;; amdgpu-corpus repo=pytorch/pytorch kind=compiled arch=gfx1250 opt=O3
	.amdgcn_target "amdgcn-amd-amdhsa--gfx1250"
	.amdhsa_code_object_version 6
	.section	.text._ZN2at6native12_GLOBAL__N_136fractional_max_pool2d_out_cuda_frameIdEEvN5torch10headeronly6detail27GenericPackedTensorAccessorINS5_14TensorAccessorIN3c108ArrayRefIlEET_Lm3ENS4_16DefaultPtrTraitsElEENS_6detail16IndexBoundsCheckILm4ElEESB_Lm4ESC_lEENS6_INS7_ISA_lLm3ESC_lEESG_lLm4ESC_lEENS6_INS7_ISA_KSB_Lm3ESC_lEESG_SK_Lm4ESC_lEENS6_INS7_ISA_SK_Lm2ESC_lEENSF_ILm3ElEESK_Lm3ESC_lEEii,"axG",@progbits,_ZN2at6native12_GLOBAL__N_136fractional_max_pool2d_out_cuda_frameIdEEvN5torch10headeronly6detail27GenericPackedTensorAccessorINS5_14TensorAccessorIN3c108ArrayRefIlEET_Lm3ENS4_16DefaultPtrTraitsElEENS_6detail16IndexBoundsCheckILm4ElEESB_Lm4ESC_lEENS6_INS7_ISA_lLm3ESC_lEESG_lLm4ESC_lEENS6_INS7_ISA_KSB_Lm3ESC_lEESG_SK_Lm4ESC_lEENS6_INS7_ISA_SK_Lm2ESC_lEENSF_ILm3ElEESK_Lm3ESC_lEEii,comdat
	.globl	_ZN2at6native12_GLOBAL__N_136fractional_max_pool2d_out_cuda_frameIdEEvN5torch10headeronly6detail27GenericPackedTensorAccessorINS5_14TensorAccessorIN3c108ArrayRefIlEET_Lm3ENS4_16DefaultPtrTraitsElEENS_6detail16IndexBoundsCheckILm4ElEESB_Lm4ESC_lEENS6_INS7_ISA_lLm3ESC_lEESG_lLm4ESC_lEENS6_INS7_ISA_KSB_Lm3ESC_lEESG_SK_Lm4ESC_lEENS6_INS7_ISA_SK_Lm2ESC_lEENSF_ILm3ElEESK_Lm3ESC_lEEii ; -- Begin function _ZN2at6native12_GLOBAL__N_136fractional_max_pool2d_out_cuda_frameIdEEvN5torch10headeronly6detail27GenericPackedTensorAccessorINS5_14TensorAccessorIN3c108ArrayRefIlEET_Lm3ENS4_16DefaultPtrTraitsElEENS_6detail16IndexBoundsCheckILm4ElEESB_Lm4ESC_lEENS6_INS7_ISA_lLm3ESC_lEESG_lLm4ESC_lEENS6_INS7_ISA_KSB_Lm3ESC_lEESG_SK_Lm4ESC_lEENS6_INS7_ISA_SK_Lm2ESC_lEENSF_ILm3ElEESK_Lm3ESC_lEEii
	.p2align	8
	.type	_ZN2at6native12_GLOBAL__N_136fractional_max_pool2d_out_cuda_frameIdEEvN5torch10headeronly6detail27GenericPackedTensorAccessorINS5_14TensorAccessorIN3c108ArrayRefIlEET_Lm3ENS4_16DefaultPtrTraitsElEENS_6detail16IndexBoundsCheckILm4ElEESB_Lm4ESC_lEENS6_INS7_ISA_lLm3ESC_lEESG_lLm4ESC_lEENS6_INS7_ISA_KSB_Lm3ESC_lEESG_SK_Lm4ESC_lEENS6_INS7_ISA_SK_Lm2ESC_lEENSF_ILm3ElEESK_Lm3ESC_lEEii,@function
_ZN2at6native12_GLOBAL__N_136fractional_max_pool2d_out_cuda_frameIdEEvN5torch10headeronly6detail27GenericPackedTensorAccessorINS5_14TensorAccessorIN3c108ArrayRefIlEET_Lm3ENS4_16DefaultPtrTraitsElEENS_6detail16IndexBoundsCheckILm4ElEESB_Lm4ESC_lEENS6_INS7_ISA_lLm3ESC_lEESG_lLm4ESC_lEENS6_INS7_ISA_KSB_Lm3ESC_lEESG_SK_Lm4ESC_lEENS6_INS7_ISA_SK_Lm2ESC_lEENSF_ILm3ElEESK_Lm3ESC_lEEii: ; @_ZN2at6native12_GLOBAL__N_136fractional_max_pool2d_out_cuda_frameIdEEvN5torch10headeronly6detail27GenericPackedTensorAccessorINS5_14TensorAccessorIN3c108ArrayRefIlEET_Lm3ENS4_16DefaultPtrTraitsElEENS_6detail16IndexBoundsCheckILm4ElEESB_Lm4ESC_lEENS6_INS7_ISA_lLm3ESC_lEESG_lLm4ESC_lEENS6_INS7_ISA_KSB_Lm3ESC_lEESG_SK_Lm4ESC_lEENS6_INS7_ISA_SK_Lm2ESC_lEENSF_ILm3ElEESK_Lm3ESC_lEEii
; %bb.0:
	s_load_b32 s2, s[0:1], 0x124
	s_bfe_u32 s4, ttmp6, 0x4000c
	s_and_b32 s8, ttmp6, 15
	s_add_co_i32 s9, s4, 1
	s_getreg_b32 s3, hwreg(HW_REG_IB_STS2, 6, 4)
	s_mul_i32 s9, ttmp9, s9
	s_load_b128 s[4:7], s[0:1], 0x18
	s_add_co_i32 s8, s8, s9
	s_wait_kmcnt 0x0
	s_and_b32 s2, s2, 0xffff
	s_cmp_eq_u32 s3, 0
	s_cselect_b32 s8, ttmp9, s8
	s_delay_alu instid0(SALU_CYCLE_1) | instskip(SKIP_2) | instid1(VALU_DEP_1)
	v_mad_u32 v2, s8, s2, v0
	s_mul_u64 s[8:9], s[6:7], s[4:5]
	s_mov_b32 s2, exec_lo
	v_ashrrev_i32_e32 v3, 31, v2
	s_delay_alu instid0(VALU_DEP_1)
	v_cmpx_gt_i64_e64 s[8:9], v[2:3]
	s_cbranch_execz .LBB0_25
; %bb.1:
	v_dual_mov_b32 v4, 0 :: v_dual_bitop2_b32 v5, s7, v3 bitop3:0x54
                                        ; implicit-def: $vgpr0_vgpr1
	s_mov_b32 s2, exec_lo
	s_delay_alu instid0(VALU_DEP_1)
	v_cmpx_ne_u64_e32 0, v[4:5]
	s_xor_b32 s5, exec_lo, s2
	s_cbranch_execz .LBB0_3
; %bb.2:
	s_ashr_i32 s8, s7, 31
	s_mov_b32 s19, 0
	s_mov_b32 s9, s8
	v_dual_mov_b32 v9, v4 :: v_dual_ashrrev_i32 v0, 31, v3
	s_add_nc_u64 s[10:11], s[6:7], s[8:9]
	v_dual_mov_b32 v17, v4 :: v_dual_mov_b32 v5, v4
	s_xor_b64 s[10:11], s[10:11], s[8:9]
	s_delay_alu instid0(VALU_DEP_2) | instskip(SKIP_3) | instid1(VALU_DEP_1)
	v_mov_b32_e32 v1, v0
	s_cvt_f32_u32 s2, s10
	s_cvt_f32_u32 s9, s11
	s_sub_nc_u64 s[14:15], 0, s[10:11]
	v_add_nc_u64_e32 v[6:7], v[2:3], v[0:1]
	s_delay_alu instid0(SALU_CYCLE_1) | instskip(SKIP_1) | instid1(SALU_CYCLE_2)
	s_fmamk_f32 s2, s9, 0x4f800000, s2
	v_mov_b32_e32 v11, v4
	v_s_rcp_f32 s2, s2
	s_delay_alu instid0(VALU_DEP_2) | instskip(NEXT) | instid1(VALU_DEP_3)
	v_xor_b32_e32 v8, v6, v0
	v_xor_b32_e32 v10, v7, v0
	;; [unrolled: 1-line block ×3, first 2 shown]
	s_delay_alu instid0(TRANS32_DEP_1) | instskip(NEXT) | instid1(SALU_CYCLE_3)
	s_mul_f32 s2, s2, 0x5f7ffffc
	s_mul_f32 s9, s2, 0x2f800000
	s_delay_alu instid0(SALU_CYCLE_3) | instskip(NEXT) | instid1(SALU_CYCLE_3)
	s_trunc_f32 s9, s9
	s_fmamk_f32 s2, s9, 0xcf800000, s2
	s_cvt_u32_f32 s13, s9
	s_delay_alu instid0(SALU_CYCLE_2) | instskip(NEXT) | instid1(SALU_CYCLE_3)
	s_cvt_u32_f32 s12, s2
	s_mul_u64 s[16:17], s[14:15], s[12:13]
	s_delay_alu instid0(SALU_CYCLE_1)
	s_mul_hi_u32 s21, s12, s17
	s_mul_i32 s20, s12, s17
	s_mul_hi_u32 s18, s12, s16
	s_mul_i32 s9, s13, s16
	s_add_nc_u64 s[20:21], s[18:19], s[20:21]
	s_mul_hi_u32 s2, s13, s16
	s_mul_hi_u32 s22, s13, s17
	s_add_co_u32 s9, s20, s9
	s_add_co_ci_u32 s18, s21, s2
	s_mul_i32 s16, s13, s17
	s_add_co_ci_u32 s17, s22, 0
	s_delay_alu instid0(SALU_CYCLE_1) | instskip(NEXT) | instid1(SALU_CYCLE_1)
	s_add_nc_u64 s[16:17], s[18:19], s[16:17]
	s_add_co_u32 s12, s12, s16
	s_cselect_b32 s2, -1, 0
	s_delay_alu instid0(SALU_CYCLE_1) | instskip(SKIP_1) | instid1(SALU_CYCLE_1)
	s_cmp_lg_u32 s2, 0
	s_add_co_ci_u32 s13, s13, s17
	s_mul_u64 s[14:15], s[14:15], s[12:13]
	s_delay_alu instid0(SALU_CYCLE_1)
	s_mul_hi_u32 s17, s12, s15
	s_mul_i32 s16, s12, s15
	s_mul_hi_u32 s18, s12, s14
	s_mul_i32 s9, s13, s14
	s_add_nc_u64 s[16:17], s[18:19], s[16:17]
	s_mul_hi_u32 s2, s13, s14
	s_mul_hi_u32 s20, s13, s15
	s_add_co_u32 s9, s16, s9
	s_add_co_ci_u32 s18, s17, s2
	s_mul_i32 s14, s13, s15
	s_add_co_ci_u32 s15, s20, 0
	s_delay_alu instid0(SALU_CYCLE_1) | instskip(NEXT) | instid1(SALU_CYCLE_1)
	s_add_nc_u64 s[14:15], s[18:19], s[14:15]
	s_add_co_u32 s2, s12, s14
	s_cselect_b32 s9, -1, 0
	v_mul_hi_u32 v16, v8, s2
	s_cmp_lg_u32 s9, 0
	s_add_co_ci_u32 s18, s13, s15
	s_mov_b64 s[12:13], 0xffffffff
	v_mul_u64_e32 v[12:13], s[18:19], v[8:9]
	s_and_b64 s[12:13], s[2:3], s[12:13]
	v_mul_u64_e32 v[14:15], s[18:19], v[10:11]
	v_mul_u64_e32 v[6:7], s[12:13], v[10:11]
	s_delay_alu instid0(VALU_DEP_3) | instskip(NEXT) | instid1(VALU_DEP_1)
	v_add_nc_u64_e32 v[12:13], v[16:17], v[12:13]
	v_add_co_u32 v1, vcc_lo, v12, v6
	s_delay_alu instid0(VALU_DEP_2) | instskip(SKIP_1) | instid1(VALU_DEP_1)
	v_add_co_ci_u32_e32 v4, vcc_lo, v13, v7, vcc_lo
	v_add_co_ci_u32_e32 v15, vcc_lo, 0, v15, vcc_lo
	v_add_nc_u64_e32 v[4:5], v[4:5], v[14:15]
	s_delay_alu instid0(VALU_DEP_1) | instskip(NEXT) | instid1(VALU_DEP_1)
	v_mul_u64_e32 v[6:7], s[10:11], v[4:5]
	v_sub_nc_u32_e32 v1, v10, v7
	s_delay_alu instid0(VALU_DEP_2) | instskip(NEXT) | instid1(VALU_DEP_1)
	v_sub_co_u32 v6, vcc_lo, v8, v6
	v_sub_co_ci_u32_e64 v10, null, v10, v7, vcc_lo
	s_delay_alu instid0(VALU_DEP_3) | instskip(NEXT) | instid1(VALU_DEP_3)
	v_subrev_co_ci_u32_e64 v1, null, s11, v1, vcc_lo
	v_sub_co_u32 v8, s2, v6, s10
	s_delay_alu instid0(VALU_DEP_1) | instskip(NEXT) | instid1(VALU_DEP_2)
	v_subrev_co_ci_u32_e64 v1, null, 0, v1, s2
	v_cmp_le_u32_e32 vcc_lo, s10, v8
	v_cndmask_b32_e64 v7, 0, -1, vcc_lo
	s_delay_alu instid0(VALU_DEP_3)
	v_cmp_le_u32_e32 vcc_lo, s11, v1
	v_cndmask_b32_e64 v8, 0, -1, vcc_lo
	v_cmp_le_u32_e32 vcc_lo, s10, v6
	v_cndmask_b32_e64 v11, 0, -1, vcc_lo
	;; [unrolled: 2-line block ×3, first 2 shown]
	v_cmp_eq_u32_e32 vcc_lo, s11, v1
	v_cndmask_b32_e32 v1, v8, v7, vcc_lo
	v_cmp_eq_u32_e32 vcc_lo, s11, v10
	v_add_nc_u64_e32 v[6:7], 2, v[4:5]
	v_add_nc_u64_e32 v[8:9], 1, v[4:5]
	v_cndmask_b32_e32 v10, v12, v11, vcc_lo
	v_cmp_ne_u32_e32 vcc_lo, 0, v1
	s_delay_alu instid0(VALU_DEP_2) | instskip(NEXT) | instid1(VALU_DEP_4)
	v_cmp_ne_u32_e64 s2, 0, v10
	v_dual_cndmask_b32 v6, v8, v6 :: v_dual_cndmask_b32 v1, v9, v7
	s_delay_alu instid0(VALU_DEP_1) | instskip(SKIP_1) | instid1(VALU_DEP_2)
	v_dual_cndmask_b32 v4, v4, v6, s2 :: v_dual_cndmask_b32 v5, v5, v1, s2
	v_mov_b32_e32 v1, v0
	v_xor_b32_e32 v4, v4, v0
	s_delay_alu instid0(VALU_DEP_3) | instskip(NEXT) | instid1(VALU_DEP_1)
	v_xor_b32_e32 v5, v5, v0
	v_sub_nc_u64_e32 v[0:1], v[4:5], v[0:1]
.LBB0_3:
	s_and_not1_saveexec_b32 s2, s5
	s_cbranch_execz .LBB0_5
; %bb.4:
	v_cvt_f32_u32_e32 v0, s6
	s_sub_co_i32 s5, 0, s6
	s_delay_alu instid0(VALU_DEP_1) | instskip(SKIP_1) | instid1(TRANS32_DEP_1)
	v_rcp_iflag_f32_e32 v0, v0
	v_nop
	v_mul_f32_e32 v0, 0x4f7ffffe, v0
	s_delay_alu instid0(VALU_DEP_1) | instskip(NEXT) | instid1(VALU_DEP_1)
	v_cvt_u32_f32_e32 v0, v0
	v_mul_lo_u32 v1, s5, v0
	s_delay_alu instid0(VALU_DEP_1) | instskip(NEXT) | instid1(VALU_DEP_1)
	v_mul_hi_u32 v1, v0, v1
	v_add_nc_u32_e32 v0, v0, v1
	s_delay_alu instid0(VALU_DEP_1) | instskip(NEXT) | instid1(VALU_DEP_1)
	v_mul_hi_u32 v0, v2, v0
	v_mul_lo_u32 v1, v0, s6
	s_delay_alu instid0(VALU_DEP_1) | instskip(NEXT) | instid1(VALU_DEP_1)
	v_sub_nc_u32_e32 v1, v2, v1
	v_subrev_nc_u32_e32 v5, s6, v1
	v_cmp_le_u32_e32 vcc_lo, s6, v1
	s_delay_alu instid0(VALU_DEP_2) | instskip(NEXT) | instid1(VALU_DEP_1)
	v_dual_cndmask_b32 v1, v1, v5 :: v_dual_add_nc_u32 v4, 1, v0
	v_cndmask_b32_e32 v0, v0, v4, vcc_lo
	s_delay_alu instid0(VALU_DEP_2) | instskip(NEXT) | instid1(VALU_DEP_2)
	v_cmp_le_u32_e32 vcc_lo, s6, v1
	v_dual_mov_b32 v1, 0 :: v_dual_add_nc_u32 v4, 1, v0
	s_delay_alu instid0(VALU_DEP_1)
	v_cndmask_b32_e32 v0, v0, v4, vcc_lo
.LBB0_5:
	s_or_b32 exec_lo, exec_lo, s2
	s_delay_alu instid0(VALU_DEP_1)
	v_mul_u64_e32 v[4:5], s[6:7], v[0:1]
	s_clause 0x3
	s_load_b64 s[16:17], s[0:1], 0x110
	s_load_b128 s[8:11], s[0:1], 0xf8
	s_load_b32 s18, s[0:1], 0xb0
	s_load_b64 s[20:21], s[0:1], 0xd8
	s_bfe_u32 s5, ttmp6, 0x40010
	s_bfe_u32 s14, ttmp6, 0x40014
	s_and_b32 s2, ttmp7, 0xffff
	s_lshr_b32 s12, ttmp7, 16
	s_add_co_i32 s5, s5, 1
	s_add_co_i32 s14, s14, 1
	s_bfe_u32 s7, ttmp6, 0x40004
	s_bfe_u32 s15, ttmp6, 0x40008
	s_mul_i32 s5, s2, s5
	s_mul_i32 s14, s12, s14
	s_add_co_i32 s7, s7, s5
	s_add_co_i32 s5, s15, s14
	s_cmp_eq_u32 s3, 0
	s_mov_b32 s13, 0
	s_cselect_b32 s12, s12, s5
	s_mov_b32 s15, s13
	s_cselect_b32 s14, s2, s7
	s_add_co_i32 s6, s6, -1
	s_wait_kmcnt 0x0
	s_mul_u64 s[2:3], s[8:9], s[12:13]
	s_sub_co_i32 s7, s18, s17
	s_mul_u64 s[8:9], s[10:11], s[14:15]
	s_lshl_b64 s[2:3], s[2:3], 3
	v_mov_b32_e32 v6, s7
	s_add_nc_u64 s[2:3], s[20:21], s[2:3]
	s_lshl_b64 s[8:9], s[8:9], 3
	s_mov_b32 s5, exec_lo
	s_add_nc_u64 s[2:3], s[2:3], s[8:9]
	v_sub_nc_u64_e32 v[2:3], v[2:3], v[4:5]
	s_delay_alu instid0(VALU_DEP_1)
	v_cmpx_ne_u32_e64 s6, v2
	s_cbranch_execz .LBB0_7
; %bb.6:
	v_cvt_f64_i32_e32 v[4:5], s7
	v_cvt_f64_i32_e32 v[6:7], s6
	s_load_b64 s[6:7], s[2:3], 0x0
	s_delay_alu instid0(VALU_DEP_1) | instskip(SKIP_1) | instid1(VALU_DEP_2)
	v_div_scale_f64 v[8:9], null, v[6:7], v[6:7], v[4:5]
	v_div_scale_f64 v[14:15], vcc_lo, v[4:5], v[6:7], v[4:5]
	v_rcp_f64_e32 v[10:11], v[8:9]
	v_nop
	s_delay_alu instid0(TRANS32_DEP_1) | instskip(NEXT) | instid1(VALU_DEP_1)
	v_fma_f64 v[12:13], -v[8:9], v[10:11], 1.0
	v_fmac_f64_e32 v[10:11], v[10:11], v[12:13]
	s_delay_alu instid0(VALU_DEP_1) | instskip(NEXT) | instid1(VALU_DEP_1)
	v_fma_f64 v[12:13], -v[8:9], v[10:11], 1.0
	v_fmac_f64_e32 v[10:11], v[10:11], v[12:13]
	s_delay_alu instid0(VALU_DEP_1) | instskip(NEXT) | instid1(VALU_DEP_1)
	v_mul_f64_e32 v[12:13], v[14:15], v[10:11]
	v_fma_f64 v[8:9], -v[8:9], v[12:13], v[14:15]
	v_cvt_f64_i32_e32 v[14:15], v2
	s_delay_alu instid0(VALU_DEP_2) | instskip(SKIP_1) | instid1(VALU_DEP_2)
	v_div_fmas_f64 v[8:9], v[8:9], v[10:11], v[12:13]
	s_wait_kmcnt 0x0
	v_add_f64_e32 v[10:11], s[6:7], v[14:15]
	s_delay_alu instid0(VALU_DEP_2) | instskip(NEXT) | instid1(VALU_DEP_1)
	v_div_fixup_f64 v[4:5], v[8:9], v[6:7], v[4:5]
	v_mul_f64_e32 v[6:7], v[4:5], v[10:11]
	v_mul_f64_e32 v[4:5], s[6:7], v[4:5]
	s_delay_alu instid0(VALU_DEP_2) | instskip(NEXT) | instid1(VALU_DEP_2)
	v_cvt_i32_f64_e32 v1, v[6:7]
	v_cvt_i32_f64_e32 v4, v[4:5]
	s_delay_alu instid0(VALU_DEP_1)
	v_sub_nc_u32_e32 v6, v1, v4
.LBB0_7:
	s_or_b32 exec_lo, exec_lo, s5
	s_load_b32 s6, s[0:1], 0xa8
	s_add_co_i32 s5, s4, -1
	s_mov_b32 s4, exec_lo
	s_wait_kmcnt 0x0
	s_sub_co_i32 s6, s6, s16
	s_delay_alu instid0(SALU_CYCLE_1)
	v_mov_b32_e32 v8, s6
	v_cmpx_ne_u32_e64 s5, v0
	s_cbranch_execz .LBB0_9
; %bb.8:
	v_cvt_f64_i32_e32 v[4:5], s6
	v_cvt_f64_i32_e32 v[8:9], s5
	s_load_b64 s[6:7], s[0:1], 0x108
	s_wait_kmcnt 0x0
	s_lshl_b64 s[6:7], s[6:7], 3
	s_delay_alu instid0(SALU_CYCLE_1) | instskip(SKIP_1) | instid1(VALU_DEP_1)
	s_add_nc_u64 s[2:3], s[2:3], s[6:7]
	s_load_b64 s[2:3], s[2:3], 0x0
	v_div_scale_f64 v[10:11], null, v[8:9], v[8:9], v[4:5]
	v_div_scale_f64 v[16:17], vcc_lo, v[4:5], v[8:9], v[4:5]
	s_delay_alu instid0(VALU_DEP_2) | instskip(SKIP_1) | instid1(TRANS32_DEP_1)
	v_rcp_f64_e32 v[12:13], v[10:11]
	v_nop
	v_fma_f64 v[14:15], -v[10:11], v[12:13], 1.0
	s_delay_alu instid0(VALU_DEP_1) | instskip(NEXT) | instid1(VALU_DEP_1)
	v_fmac_f64_e32 v[12:13], v[12:13], v[14:15]
	v_fma_f64 v[14:15], -v[10:11], v[12:13], 1.0
	s_delay_alu instid0(VALU_DEP_1) | instskip(NEXT) | instid1(VALU_DEP_1)
	v_fmac_f64_e32 v[12:13], v[12:13], v[14:15]
	v_mul_f64_e32 v[14:15], v[16:17], v[12:13]
	s_delay_alu instid0(VALU_DEP_1) | instskip(SKIP_1) | instid1(VALU_DEP_2)
	v_fma_f64 v[10:11], -v[10:11], v[14:15], v[16:17]
	v_cvt_f64_i32_e32 v[16:17], v0
	v_div_fmas_f64 v[10:11], v[10:11], v[12:13], v[14:15]
	s_wait_kmcnt 0x0
	s_delay_alu instid0(VALU_DEP_2) | instskip(NEXT) | instid1(VALU_DEP_2)
	v_add_f64_e32 v[12:13], s[2:3], v[16:17]
	v_div_fixup_f64 v[4:5], v[10:11], v[8:9], v[4:5]
	s_delay_alu instid0(VALU_DEP_1) | instskip(SKIP_1) | instid1(VALU_DEP_2)
	v_mul_f64_e32 v[8:9], v[4:5], v[12:13]
	v_mul_f64_e32 v[4:5], s[2:3], v[4:5]
	v_cvt_i32_f64_e32 v1, v[8:9]
	s_delay_alu instid0(VALU_DEP_2) | instskip(NEXT) | instid1(VALU_DEP_1)
	v_cvt_i32_f64_e32 v4, v[4:5]
	v_sub_nc_u32_e32 v8, v1, v4
.LBB0_9:
	s_or_b32 exec_lo, exec_lo, s4
	s_delay_alu instid0(VALU_DEP_1) | instskip(SKIP_1) | instid1(VALU_DEP_1)
	v_mul_lo_u32 v1, v8, s18
	s_cmp_lt_i32 s16, 1
	v_add_nc_u32_e32 v4, v1, v6
	s_cbranch_scc1 .LBB0_23
; %bb.10:
	s_load_b256 s[4:11], s[0:1], 0xb8
	v_dual_ashrrev_i32 v7, 31, v6 :: v_dual_ashrrev_i32 v9, 31, v8
	s_add_co_i32 s2, s17, -8
	v_mov_b64_e32 v[14:15], 0xfff0000000000000
	s_cmp_gt_u32 s2, -7
	s_load_b64 s[2:3], s[0:1], 0x90
	s_cselect_b32 s19, -1, 0
	s_cmp_gt_i32 s17, 0
	v_add_nc_u32_e32 v5, s16, v8
	s_cselect_b32 s20, -1, 0
	v_mov_b32_e32 v18, v4
	s_mov_b32 s16, 0
	s_wait_kmcnt 0x0
	v_mul_u64_e32 v[10:11], s[10:11], v[6:7]
	v_mul_u64_e32 v[12:13], s[8:9], v[8:9]
	s_mul_u64 s[6:7], s[6:7], s[14:15]
	s_mul_u64 s[4:5], s[4:5], s[12:13]
	s_lshl_b64 s[6:7], s[6:7], 3
	s_lshl_b64 s[4:5], s[4:5], 3
	v_add_nc_u32_e32 v7, s17, v6
	s_add_nc_u64 s[4:5], s[4:5], s[6:7]
	v_cndmask_b32_e64 v9, 0, 1, s20
	s_lshl_b64 s[6:7], s[10:11], 3
	s_delay_alu instid0(VALU_DEP_4) | instskip(SKIP_1) | instid1(VALU_DEP_1)
	v_lshl_add_u64 v[10:11], v[10:11], 3, s[4:5]
	s_lshl_b64 s[4:5], s[8:9], 3
	v_lshl_add_u64 v[10:11], v[12:13], 3, v[10:11]
	s_delay_alu instid0(VALU_DEP_1)
	v_add_nc_u64_e32 v[10:11], s[2:3], v[10:11]
	s_branch .LBB0_13
.LBB0_11:                               ;   in Loop: Header=BB0_13 Depth=1
	v_mov_b64_e32 v[12:13], v[14:15]
	v_mov_b32_e32 v19, v18
.LBB0_12:                               ;   in Loop: Header=BB0_13 Depth=1
	v_dual_add_nc_u32 v8, 1, v8 :: v_dual_add_nc_u32 v1, s18, v1
	v_add_nc_u64_e32 v[10:11], s[4:5], v[10:11]
	s_delay_alu instid0(VALU_DEP_4) | instskip(NEXT) | instid1(VALU_DEP_4)
	v_mov_b64_e32 v[14:15], v[12:13]
	v_dual_add_nc_u32 v4, s18, v4 :: v_dual_mov_b32 v18, v19
	s_delay_alu instid0(VALU_DEP_4) | instskip(SKIP_1) | instid1(SALU_CYCLE_1)
	v_cmp_ge_i32_e32 vcc_lo, v8, v5
	s_or_b32 s16, vcc_lo, s16
	s_and_not1_b32 exec_lo, exec_lo, s16
	s_cbranch_execz .LBB0_22
.LBB0_13:                               ; =>This Loop Header: Depth=1
                                        ;     Child Loop BB0_15 Depth 2
                                        ;     Child Loop BB0_20 Depth 2
	v_cmp_ne_u32_e64 s2, 1, v9
	s_and_not1_b32 vcc_lo, exec_lo, s19
	s_mov_b32 s3, -1
                                        ; implicit-def: $vgpr12_vgpr13
                                        ; implicit-def: $vgpr19
	s_cbranch_vccnz .LBB0_17
; %bb.14:                               ;   in Loop: Header=BB0_13 Depth=1
	v_mov_b64_e32 v[12:13], v[14:15]
	v_mov_b64_e32 v[16:17], v[10:11]
	v_dual_mov_b32 v19, v18 :: v_dual_mov_b32 v20, v4
	s_and_b32 vcc_lo, exec_lo, s2
	s_mov_b32 s3, s17
	s_cbranch_vccnz .LBB0_16
.LBB0_15:                               ;   Parent Loop BB0_13 Depth=1
                                        ; =>  This Inner Loop Header: Depth=2
	global_load_b64 v[22:23], v[16:17], off
	s_wait_xcnt 0x0
	v_add_nc_u64_e32 v[16:17], s[6:7], v[16:17]
	s_add_co_i32 s3, s3, -1
	s_wait_loadcnt 0x0
	v_cmp_gt_f64_e32 vcc_lo, v[22:23], v[12:13]
	v_cmp_u_f64_e64 s2, v[22:23], v[22:23]
	s_or_b32 vcc_lo, vcc_lo, s2
	s_cmp_lg_u32 s3, 0
	v_dual_cndmask_b32 v19, v19, v20 :: v_dual_add_nc_u32 v20, 1, v20
	v_dual_cndmask_b32 v13, v13, v23 :: v_dual_cndmask_b32 v12, v12, v22
	s_cbranch_scc1 .LBB0_15
.LBB0_16:                               ;   in Loop: Header=BB0_13 Depth=1
	s_mov_b32 s3, 0
.LBB0_17:                               ;   in Loop: Header=BB0_13 Depth=1
	s_delay_alu instid0(SALU_CYCLE_1)
	s_and_not1_b32 vcc_lo, exec_lo, s3
	s_cbranch_vccnz .LBB0_12
; %bb.18:                               ;   in Loop: Header=BB0_13 Depth=1
	s_and_not1_b32 vcc_lo, exec_lo, s20
	s_cbranch_vccnz .LBB0_11
; %bb.19:                               ;   in Loop: Header=BB0_13 Depth=1
	v_mov_b64_e32 v[12:13], v[10:11]
	v_mov_b32_e32 v16, v6
	s_mov_b32 s8, 0
.LBB0_20:                               ;   Parent Loop BB0_13 Depth=1
                                        ; =>  This Inner Loop Header: Depth=2
	global_load_b64 v[20:21], v[12:13], off
	v_dual_add_nc_u32 v17, v1, v16 :: v_dual_add_nc_u32 v16, 1, v16
	s_wait_xcnt 0x0
	v_add_nc_u64_e32 v[12:13], s[6:7], v[12:13]
	s_delay_alu instid0(VALU_DEP_2)
	v_cmp_ge_i32_e64 s3, v16, v7
	s_wait_loadcnt 0x0
	v_cmp_gt_f64_e32 vcc_lo, v[20:21], v[14:15]
	v_cmp_u_f64_e64 s2, v[20:21], v[20:21]
	s_or_b32 vcc_lo, vcc_lo, s2
	s_or_b32 s8, s3, s8
	v_cndmask_b32_e32 v18, v18, v17, vcc_lo
	v_dual_cndmask_b32 v15, v15, v21 :: v_dual_cndmask_b32 v14, v14, v20
	s_and_not1_b32 exec_lo, exec_lo, s8
	s_cbranch_execnz .LBB0_20
; %bb.21:                               ;   in Loop: Header=BB0_13 Depth=1
	s_or_b32 exec_lo, exec_lo, s8
	s_branch .LBB0_11
.LBB0_22:
	s_or_b32 exec_lo, exec_lo, s16
	v_mov_b32_e32 v4, v19
	s_branch .LBB0_24
.LBB0_23:
	v_mov_b64_e32 v[12:13], 0xfff0000000000000
.LBB0_24:
	s_clause 0x1
	s_load_b256 s[4:11], s[0:1], 0x70
	s_load_b256 s[16:23], s[0:1], 0x28
	v_ashrrev_i32_e32 v1, 31, v0
	v_ashrrev_i32_e32 v5, 31, v4
	s_wait_kmcnt 0x0
	s_delay_alu instid0(VALU_DEP_2)
	v_mul_u64_e32 v[6:7], s[8:9], v[0:1]
	v_mul_u64_e32 v[0:1], s[20:21], v[0:1]
	;; [unrolled: 1-line block ×4, first 2 shown]
	s_clause 0x1
	s_load_b64 s[2:3], s[0:1], 0x48
	s_load_b64 s[8:9], s[0:1], 0x0
	s_wait_xcnt 0x0
	s_mul_u64 s[0:1], s[4:5], s[12:13]
	s_mul_u64 s[4:5], s[6:7], s[14:15]
	;; [unrolled: 1-line block ×3, first 2 shown]
	s_lshl_b64 s[0:1], s[0:1], 3
	s_mul_u64 s[10:11], s[18:19], s[14:15]
	s_lshl_b64 s[6:7], s[6:7], 3
	s_lshl_b64 s[4:5], s[4:5], 3
	;; [unrolled: 1-line block ×3, first 2 shown]
	s_wait_kmcnt 0x0
	s_add_nc_u64 s[0:1], s[2:3], s[0:1]
	s_add_nc_u64 s[2:3], s[8:9], s[6:7]
	;; [unrolled: 1-line block ×4, first 2 shown]
	s_delay_alu instid0(VALU_DEP_4) | instskip(NEXT) | instid1(VALU_DEP_4)
	v_lshl_add_u64 v[6:7], v[6:7], 3, s[0:1]
	v_lshl_add_u64 v[0:1], v[0:1], 3, s[2:3]
	s_delay_alu instid0(VALU_DEP_2) | instskip(NEXT) | instid1(VALU_DEP_2)
	v_lshl_add_u64 v[6:7], v[8:9], 3, v[6:7]
	v_lshl_add_u64 v[0:1], v[2:3], 3, v[0:1]
	global_store_b64 v[6:7], v[4:5], off
	global_store_b64 v[0:1], v[12:13], off
.LBB0_25:
	s_endpgm
	.section	.rodata,"a",@progbits
	.p2align	6, 0x0
	.amdhsa_kernel _ZN2at6native12_GLOBAL__N_136fractional_max_pool2d_out_cuda_frameIdEEvN5torch10headeronly6detail27GenericPackedTensorAccessorINS5_14TensorAccessorIN3c108ArrayRefIlEET_Lm3ENS4_16DefaultPtrTraitsElEENS_6detail16IndexBoundsCheckILm4ElEESB_Lm4ESC_lEENS6_INS7_ISA_lLm3ESC_lEESG_lLm4ESC_lEENS6_INS7_ISA_KSB_Lm3ESC_lEESG_SK_Lm4ESC_lEENS6_INS7_ISA_SK_Lm2ESC_lEENSF_ILm3ElEESK_Lm3ESC_lEEii
		.amdhsa_group_segment_fixed_size 0
		.amdhsa_private_segment_fixed_size 0
		.amdhsa_kernarg_size 536
		.amdhsa_user_sgpr_count 2
		.amdhsa_user_sgpr_dispatch_ptr 0
		.amdhsa_user_sgpr_queue_ptr 0
		.amdhsa_user_sgpr_kernarg_segment_ptr 1
		.amdhsa_user_sgpr_dispatch_id 0
		.amdhsa_user_sgpr_kernarg_preload_length 0
		.amdhsa_user_sgpr_kernarg_preload_offset 0
		.amdhsa_user_sgpr_private_segment_size 0
		.amdhsa_wavefront_size32 1
		.amdhsa_uses_dynamic_stack 0
		.amdhsa_enable_private_segment 0
		.amdhsa_system_sgpr_workgroup_id_x 1
		.amdhsa_system_sgpr_workgroup_id_y 1
		.amdhsa_system_sgpr_workgroup_id_z 1
		.amdhsa_system_sgpr_workgroup_info 0
		.amdhsa_system_vgpr_workitem_id 0
		.amdhsa_next_free_vgpr 24
		.amdhsa_next_free_sgpr 24
		.amdhsa_named_barrier_count 0
		.amdhsa_reserve_vcc 1
		.amdhsa_float_round_mode_32 0
		.amdhsa_float_round_mode_16_64 0
		.amdhsa_float_denorm_mode_32 3
		.amdhsa_float_denorm_mode_16_64 3
		.amdhsa_fp16_overflow 0
		.amdhsa_memory_ordered 1
		.amdhsa_forward_progress 1
		.amdhsa_inst_pref_size 17
		.amdhsa_round_robin_scheduling 0
		.amdhsa_exception_fp_ieee_invalid_op 0
		.amdhsa_exception_fp_denorm_src 0
		.amdhsa_exception_fp_ieee_div_zero 0
		.amdhsa_exception_fp_ieee_overflow 0
		.amdhsa_exception_fp_ieee_underflow 0
		.amdhsa_exception_fp_ieee_inexact 0
		.amdhsa_exception_int_div_zero 0
	.end_amdhsa_kernel
	.section	.text._ZN2at6native12_GLOBAL__N_136fractional_max_pool2d_out_cuda_frameIdEEvN5torch10headeronly6detail27GenericPackedTensorAccessorINS5_14TensorAccessorIN3c108ArrayRefIlEET_Lm3ENS4_16DefaultPtrTraitsElEENS_6detail16IndexBoundsCheckILm4ElEESB_Lm4ESC_lEENS6_INS7_ISA_lLm3ESC_lEESG_lLm4ESC_lEENS6_INS7_ISA_KSB_Lm3ESC_lEESG_SK_Lm4ESC_lEENS6_INS7_ISA_SK_Lm2ESC_lEENSF_ILm3ElEESK_Lm3ESC_lEEii,"axG",@progbits,_ZN2at6native12_GLOBAL__N_136fractional_max_pool2d_out_cuda_frameIdEEvN5torch10headeronly6detail27GenericPackedTensorAccessorINS5_14TensorAccessorIN3c108ArrayRefIlEET_Lm3ENS4_16DefaultPtrTraitsElEENS_6detail16IndexBoundsCheckILm4ElEESB_Lm4ESC_lEENS6_INS7_ISA_lLm3ESC_lEESG_lLm4ESC_lEENS6_INS7_ISA_KSB_Lm3ESC_lEESG_SK_Lm4ESC_lEENS6_INS7_ISA_SK_Lm2ESC_lEENSF_ILm3ElEESK_Lm3ESC_lEEii,comdat
.Lfunc_end0:
	.size	_ZN2at6native12_GLOBAL__N_136fractional_max_pool2d_out_cuda_frameIdEEvN5torch10headeronly6detail27GenericPackedTensorAccessorINS5_14TensorAccessorIN3c108ArrayRefIlEET_Lm3ENS4_16DefaultPtrTraitsElEENS_6detail16IndexBoundsCheckILm4ElEESB_Lm4ESC_lEENS6_INS7_ISA_lLm3ESC_lEESG_lLm4ESC_lEENS6_INS7_ISA_KSB_Lm3ESC_lEESG_SK_Lm4ESC_lEENS6_INS7_ISA_SK_Lm2ESC_lEENSF_ILm3ElEESK_Lm3ESC_lEEii, .Lfunc_end0-_ZN2at6native12_GLOBAL__N_136fractional_max_pool2d_out_cuda_frameIdEEvN5torch10headeronly6detail27GenericPackedTensorAccessorINS5_14TensorAccessorIN3c108ArrayRefIlEET_Lm3ENS4_16DefaultPtrTraitsElEENS_6detail16IndexBoundsCheckILm4ElEESB_Lm4ESC_lEENS6_INS7_ISA_lLm3ESC_lEESG_lLm4ESC_lEENS6_INS7_ISA_KSB_Lm3ESC_lEESG_SK_Lm4ESC_lEENS6_INS7_ISA_SK_Lm2ESC_lEENSF_ILm3ElEESK_Lm3ESC_lEEii
                                        ; -- End function
	.set _ZN2at6native12_GLOBAL__N_136fractional_max_pool2d_out_cuda_frameIdEEvN5torch10headeronly6detail27GenericPackedTensorAccessorINS5_14TensorAccessorIN3c108ArrayRefIlEET_Lm3ENS4_16DefaultPtrTraitsElEENS_6detail16IndexBoundsCheckILm4ElEESB_Lm4ESC_lEENS6_INS7_ISA_lLm3ESC_lEESG_lLm4ESC_lEENS6_INS7_ISA_KSB_Lm3ESC_lEESG_SK_Lm4ESC_lEENS6_INS7_ISA_SK_Lm2ESC_lEENSF_ILm3ElEESK_Lm3ESC_lEEii.num_vgpr, 24
	.set _ZN2at6native12_GLOBAL__N_136fractional_max_pool2d_out_cuda_frameIdEEvN5torch10headeronly6detail27GenericPackedTensorAccessorINS5_14TensorAccessorIN3c108ArrayRefIlEET_Lm3ENS4_16DefaultPtrTraitsElEENS_6detail16IndexBoundsCheckILm4ElEESB_Lm4ESC_lEENS6_INS7_ISA_lLm3ESC_lEESG_lLm4ESC_lEENS6_INS7_ISA_KSB_Lm3ESC_lEESG_SK_Lm4ESC_lEENS6_INS7_ISA_SK_Lm2ESC_lEENSF_ILm3ElEESK_Lm3ESC_lEEii.num_agpr, 0
	.set _ZN2at6native12_GLOBAL__N_136fractional_max_pool2d_out_cuda_frameIdEEvN5torch10headeronly6detail27GenericPackedTensorAccessorINS5_14TensorAccessorIN3c108ArrayRefIlEET_Lm3ENS4_16DefaultPtrTraitsElEENS_6detail16IndexBoundsCheckILm4ElEESB_Lm4ESC_lEENS6_INS7_ISA_lLm3ESC_lEESG_lLm4ESC_lEENS6_INS7_ISA_KSB_Lm3ESC_lEESG_SK_Lm4ESC_lEENS6_INS7_ISA_SK_Lm2ESC_lEENSF_ILm3ElEESK_Lm3ESC_lEEii.numbered_sgpr, 24
	.set _ZN2at6native12_GLOBAL__N_136fractional_max_pool2d_out_cuda_frameIdEEvN5torch10headeronly6detail27GenericPackedTensorAccessorINS5_14TensorAccessorIN3c108ArrayRefIlEET_Lm3ENS4_16DefaultPtrTraitsElEENS_6detail16IndexBoundsCheckILm4ElEESB_Lm4ESC_lEENS6_INS7_ISA_lLm3ESC_lEESG_lLm4ESC_lEENS6_INS7_ISA_KSB_Lm3ESC_lEESG_SK_Lm4ESC_lEENS6_INS7_ISA_SK_Lm2ESC_lEENSF_ILm3ElEESK_Lm3ESC_lEEii.num_named_barrier, 0
	.set _ZN2at6native12_GLOBAL__N_136fractional_max_pool2d_out_cuda_frameIdEEvN5torch10headeronly6detail27GenericPackedTensorAccessorINS5_14TensorAccessorIN3c108ArrayRefIlEET_Lm3ENS4_16DefaultPtrTraitsElEENS_6detail16IndexBoundsCheckILm4ElEESB_Lm4ESC_lEENS6_INS7_ISA_lLm3ESC_lEESG_lLm4ESC_lEENS6_INS7_ISA_KSB_Lm3ESC_lEESG_SK_Lm4ESC_lEENS6_INS7_ISA_SK_Lm2ESC_lEENSF_ILm3ElEESK_Lm3ESC_lEEii.private_seg_size, 0
	.set _ZN2at6native12_GLOBAL__N_136fractional_max_pool2d_out_cuda_frameIdEEvN5torch10headeronly6detail27GenericPackedTensorAccessorINS5_14TensorAccessorIN3c108ArrayRefIlEET_Lm3ENS4_16DefaultPtrTraitsElEENS_6detail16IndexBoundsCheckILm4ElEESB_Lm4ESC_lEENS6_INS7_ISA_lLm3ESC_lEESG_lLm4ESC_lEENS6_INS7_ISA_KSB_Lm3ESC_lEESG_SK_Lm4ESC_lEENS6_INS7_ISA_SK_Lm2ESC_lEENSF_ILm3ElEESK_Lm3ESC_lEEii.uses_vcc, 1
	.set _ZN2at6native12_GLOBAL__N_136fractional_max_pool2d_out_cuda_frameIdEEvN5torch10headeronly6detail27GenericPackedTensorAccessorINS5_14TensorAccessorIN3c108ArrayRefIlEET_Lm3ENS4_16DefaultPtrTraitsElEENS_6detail16IndexBoundsCheckILm4ElEESB_Lm4ESC_lEENS6_INS7_ISA_lLm3ESC_lEESG_lLm4ESC_lEENS6_INS7_ISA_KSB_Lm3ESC_lEESG_SK_Lm4ESC_lEENS6_INS7_ISA_SK_Lm2ESC_lEENSF_ILm3ElEESK_Lm3ESC_lEEii.uses_flat_scratch, 0
	.set _ZN2at6native12_GLOBAL__N_136fractional_max_pool2d_out_cuda_frameIdEEvN5torch10headeronly6detail27GenericPackedTensorAccessorINS5_14TensorAccessorIN3c108ArrayRefIlEET_Lm3ENS4_16DefaultPtrTraitsElEENS_6detail16IndexBoundsCheckILm4ElEESB_Lm4ESC_lEENS6_INS7_ISA_lLm3ESC_lEESG_lLm4ESC_lEENS6_INS7_ISA_KSB_Lm3ESC_lEESG_SK_Lm4ESC_lEENS6_INS7_ISA_SK_Lm2ESC_lEENSF_ILm3ElEESK_Lm3ESC_lEEii.has_dyn_sized_stack, 0
	.set _ZN2at6native12_GLOBAL__N_136fractional_max_pool2d_out_cuda_frameIdEEvN5torch10headeronly6detail27GenericPackedTensorAccessorINS5_14TensorAccessorIN3c108ArrayRefIlEET_Lm3ENS4_16DefaultPtrTraitsElEENS_6detail16IndexBoundsCheckILm4ElEESB_Lm4ESC_lEENS6_INS7_ISA_lLm3ESC_lEESG_lLm4ESC_lEENS6_INS7_ISA_KSB_Lm3ESC_lEESG_SK_Lm4ESC_lEENS6_INS7_ISA_SK_Lm2ESC_lEENSF_ILm3ElEESK_Lm3ESC_lEEii.has_recursion, 0
	.set _ZN2at6native12_GLOBAL__N_136fractional_max_pool2d_out_cuda_frameIdEEvN5torch10headeronly6detail27GenericPackedTensorAccessorINS5_14TensorAccessorIN3c108ArrayRefIlEET_Lm3ENS4_16DefaultPtrTraitsElEENS_6detail16IndexBoundsCheckILm4ElEESB_Lm4ESC_lEENS6_INS7_ISA_lLm3ESC_lEESG_lLm4ESC_lEENS6_INS7_ISA_KSB_Lm3ESC_lEESG_SK_Lm4ESC_lEENS6_INS7_ISA_SK_Lm2ESC_lEENSF_ILm3ElEESK_Lm3ESC_lEEii.has_indirect_call, 0
	.section	.AMDGPU.csdata,"",@progbits
; Kernel info:
; codeLenInByte = 2148
; TotalNumSgprs: 26
; NumVgprs: 24
; ScratchSize: 0
; MemoryBound: 0
; FloatMode: 240
; IeeeMode: 1
; LDSByteSize: 0 bytes/workgroup (compile time only)
; SGPRBlocks: 0
; VGPRBlocks: 1
; NumSGPRsForWavesPerEU: 26
; NumVGPRsForWavesPerEU: 24
; NamedBarCnt: 0
; Occupancy: 16
; WaveLimiterHint : 1
; COMPUTE_PGM_RSRC2:SCRATCH_EN: 0
; COMPUTE_PGM_RSRC2:USER_SGPR: 2
; COMPUTE_PGM_RSRC2:TRAP_HANDLER: 0
; COMPUTE_PGM_RSRC2:TGID_X_EN: 1
; COMPUTE_PGM_RSRC2:TGID_Y_EN: 1
; COMPUTE_PGM_RSRC2:TGID_Z_EN: 1
; COMPUTE_PGM_RSRC2:TIDIG_COMP_CNT: 0
	.section	.text._ZN2at6native12_GLOBAL__N_136fractional_max_pool2d_out_cuda_frameIfEEvN5torch10headeronly6detail27GenericPackedTensorAccessorINS5_14TensorAccessorIN3c108ArrayRefIlEET_Lm3ENS4_16DefaultPtrTraitsElEENS_6detail16IndexBoundsCheckILm4ElEESB_Lm4ESC_lEENS6_INS7_ISA_lLm3ESC_lEESG_lLm4ESC_lEENS6_INS7_ISA_KSB_Lm3ESC_lEESG_SK_Lm4ESC_lEENS6_INS7_ISA_SK_Lm2ESC_lEENSF_ILm3ElEESK_Lm3ESC_lEEii,"axG",@progbits,_ZN2at6native12_GLOBAL__N_136fractional_max_pool2d_out_cuda_frameIfEEvN5torch10headeronly6detail27GenericPackedTensorAccessorINS5_14TensorAccessorIN3c108ArrayRefIlEET_Lm3ENS4_16DefaultPtrTraitsElEENS_6detail16IndexBoundsCheckILm4ElEESB_Lm4ESC_lEENS6_INS7_ISA_lLm3ESC_lEESG_lLm4ESC_lEENS6_INS7_ISA_KSB_Lm3ESC_lEESG_SK_Lm4ESC_lEENS6_INS7_ISA_SK_Lm2ESC_lEENSF_ILm3ElEESK_Lm3ESC_lEEii,comdat
	.globl	_ZN2at6native12_GLOBAL__N_136fractional_max_pool2d_out_cuda_frameIfEEvN5torch10headeronly6detail27GenericPackedTensorAccessorINS5_14TensorAccessorIN3c108ArrayRefIlEET_Lm3ENS4_16DefaultPtrTraitsElEENS_6detail16IndexBoundsCheckILm4ElEESB_Lm4ESC_lEENS6_INS7_ISA_lLm3ESC_lEESG_lLm4ESC_lEENS6_INS7_ISA_KSB_Lm3ESC_lEESG_SK_Lm4ESC_lEENS6_INS7_ISA_SK_Lm2ESC_lEENSF_ILm3ElEESK_Lm3ESC_lEEii ; -- Begin function _ZN2at6native12_GLOBAL__N_136fractional_max_pool2d_out_cuda_frameIfEEvN5torch10headeronly6detail27GenericPackedTensorAccessorINS5_14TensorAccessorIN3c108ArrayRefIlEET_Lm3ENS4_16DefaultPtrTraitsElEENS_6detail16IndexBoundsCheckILm4ElEESB_Lm4ESC_lEENS6_INS7_ISA_lLm3ESC_lEESG_lLm4ESC_lEENS6_INS7_ISA_KSB_Lm3ESC_lEESG_SK_Lm4ESC_lEENS6_INS7_ISA_SK_Lm2ESC_lEENSF_ILm3ElEESK_Lm3ESC_lEEii
	.p2align	8
	.type	_ZN2at6native12_GLOBAL__N_136fractional_max_pool2d_out_cuda_frameIfEEvN5torch10headeronly6detail27GenericPackedTensorAccessorINS5_14TensorAccessorIN3c108ArrayRefIlEET_Lm3ENS4_16DefaultPtrTraitsElEENS_6detail16IndexBoundsCheckILm4ElEESB_Lm4ESC_lEENS6_INS7_ISA_lLm3ESC_lEESG_lLm4ESC_lEENS6_INS7_ISA_KSB_Lm3ESC_lEESG_SK_Lm4ESC_lEENS6_INS7_ISA_SK_Lm2ESC_lEENSF_ILm3ElEESK_Lm3ESC_lEEii,@function
_ZN2at6native12_GLOBAL__N_136fractional_max_pool2d_out_cuda_frameIfEEvN5torch10headeronly6detail27GenericPackedTensorAccessorINS5_14TensorAccessorIN3c108ArrayRefIlEET_Lm3ENS4_16DefaultPtrTraitsElEENS_6detail16IndexBoundsCheckILm4ElEESB_Lm4ESC_lEENS6_INS7_ISA_lLm3ESC_lEESG_lLm4ESC_lEENS6_INS7_ISA_KSB_Lm3ESC_lEESG_SK_Lm4ESC_lEENS6_INS7_ISA_SK_Lm2ESC_lEENSF_ILm3ElEESK_Lm3ESC_lEEii: ; @_ZN2at6native12_GLOBAL__N_136fractional_max_pool2d_out_cuda_frameIfEEvN5torch10headeronly6detail27GenericPackedTensorAccessorINS5_14TensorAccessorIN3c108ArrayRefIlEET_Lm3ENS4_16DefaultPtrTraitsElEENS_6detail16IndexBoundsCheckILm4ElEESB_Lm4ESC_lEENS6_INS7_ISA_lLm3ESC_lEESG_lLm4ESC_lEENS6_INS7_ISA_KSB_Lm3ESC_lEESG_SK_Lm4ESC_lEENS6_INS7_ISA_SK_Lm2ESC_lEENSF_ILm3ElEESK_Lm3ESC_lEEii
; %bb.0:
	s_load_b32 s2, s[0:1], 0x124
	s_bfe_u32 s4, ttmp6, 0x4000c
	s_and_b32 s8, ttmp6, 15
	s_add_co_i32 s9, s4, 1
	s_getreg_b32 s3, hwreg(HW_REG_IB_STS2, 6, 4)
	s_mul_i32 s9, ttmp9, s9
	s_load_b128 s[4:7], s[0:1], 0x18
	s_add_co_i32 s8, s8, s9
	s_wait_kmcnt 0x0
	s_and_b32 s2, s2, 0xffff
	s_cmp_eq_u32 s3, 0
	s_cselect_b32 s8, ttmp9, s8
	s_delay_alu instid0(SALU_CYCLE_1) | instskip(SKIP_2) | instid1(VALU_DEP_1)
	v_mad_u32 v2, s8, s2, v0
	s_mul_u64 s[8:9], s[6:7], s[4:5]
	s_mov_b32 s2, exec_lo
	v_ashrrev_i32_e32 v3, 31, v2
	s_delay_alu instid0(VALU_DEP_1)
	v_cmpx_gt_i64_e64 s[8:9], v[2:3]
	s_cbranch_execz .LBB1_25
; %bb.1:
	v_dual_mov_b32 v4, 0 :: v_dual_bitop2_b32 v5, s7, v3 bitop3:0x54
                                        ; implicit-def: $vgpr0_vgpr1
	s_mov_b32 s2, exec_lo
	s_delay_alu instid0(VALU_DEP_1)
	v_cmpx_ne_u64_e32 0, v[4:5]
	s_xor_b32 s5, exec_lo, s2
	s_cbranch_execz .LBB1_3
; %bb.2:
	s_ashr_i32 s8, s7, 31
	s_mov_b32 s19, 0
	s_mov_b32 s9, s8
	v_dual_mov_b32 v9, v4 :: v_dual_ashrrev_i32 v0, 31, v3
	s_add_nc_u64 s[10:11], s[6:7], s[8:9]
	v_dual_mov_b32 v17, v4 :: v_dual_mov_b32 v5, v4
	s_xor_b64 s[10:11], s[10:11], s[8:9]
	s_delay_alu instid0(VALU_DEP_2) | instskip(SKIP_3) | instid1(VALU_DEP_1)
	v_mov_b32_e32 v1, v0
	s_cvt_f32_u32 s2, s10
	s_cvt_f32_u32 s9, s11
	s_sub_nc_u64 s[14:15], 0, s[10:11]
	v_add_nc_u64_e32 v[6:7], v[2:3], v[0:1]
	s_delay_alu instid0(SALU_CYCLE_1) | instskip(SKIP_1) | instid1(SALU_CYCLE_2)
	s_fmamk_f32 s2, s9, 0x4f800000, s2
	v_mov_b32_e32 v11, v4
	v_s_rcp_f32 s2, s2
	s_delay_alu instid0(VALU_DEP_2) | instskip(NEXT) | instid1(VALU_DEP_3)
	v_xor_b32_e32 v8, v6, v0
	v_xor_b32_e32 v10, v7, v0
	;; [unrolled: 1-line block ×3, first 2 shown]
	s_delay_alu instid0(TRANS32_DEP_1) | instskip(NEXT) | instid1(SALU_CYCLE_3)
	s_mul_f32 s2, s2, 0x5f7ffffc
	s_mul_f32 s9, s2, 0x2f800000
	s_delay_alu instid0(SALU_CYCLE_3) | instskip(NEXT) | instid1(SALU_CYCLE_3)
	s_trunc_f32 s9, s9
	s_fmamk_f32 s2, s9, 0xcf800000, s2
	s_cvt_u32_f32 s13, s9
	s_delay_alu instid0(SALU_CYCLE_2) | instskip(NEXT) | instid1(SALU_CYCLE_3)
	s_cvt_u32_f32 s12, s2
	s_mul_u64 s[16:17], s[14:15], s[12:13]
	s_delay_alu instid0(SALU_CYCLE_1)
	s_mul_hi_u32 s21, s12, s17
	s_mul_i32 s20, s12, s17
	s_mul_hi_u32 s18, s12, s16
	s_mul_i32 s9, s13, s16
	s_add_nc_u64 s[20:21], s[18:19], s[20:21]
	s_mul_hi_u32 s2, s13, s16
	s_mul_hi_u32 s22, s13, s17
	s_add_co_u32 s9, s20, s9
	s_add_co_ci_u32 s18, s21, s2
	s_mul_i32 s16, s13, s17
	s_add_co_ci_u32 s17, s22, 0
	s_delay_alu instid0(SALU_CYCLE_1) | instskip(NEXT) | instid1(SALU_CYCLE_1)
	s_add_nc_u64 s[16:17], s[18:19], s[16:17]
	s_add_co_u32 s12, s12, s16
	s_cselect_b32 s2, -1, 0
	s_delay_alu instid0(SALU_CYCLE_1) | instskip(SKIP_1) | instid1(SALU_CYCLE_1)
	s_cmp_lg_u32 s2, 0
	s_add_co_ci_u32 s13, s13, s17
	s_mul_u64 s[14:15], s[14:15], s[12:13]
	s_delay_alu instid0(SALU_CYCLE_1)
	s_mul_hi_u32 s17, s12, s15
	s_mul_i32 s16, s12, s15
	s_mul_hi_u32 s18, s12, s14
	s_mul_i32 s9, s13, s14
	s_add_nc_u64 s[16:17], s[18:19], s[16:17]
	s_mul_hi_u32 s2, s13, s14
	s_mul_hi_u32 s20, s13, s15
	s_add_co_u32 s9, s16, s9
	s_add_co_ci_u32 s18, s17, s2
	s_mul_i32 s14, s13, s15
	s_add_co_ci_u32 s15, s20, 0
	s_delay_alu instid0(SALU_CYCLE_1) | instskip(NEXT) | instid1(SALU_CYCLE_1)
	s_add_nc_u64 s[14:15], s[18:19], s[14:15]
	s_add_co_u32 s2, s12, s14
	s_cselect_b32 s9, -1, 0
	v_mul_hi_u32 v16, v8, s2
	s_cmp_lg_u32 s9, 0
	s_add_co_ci_u32 s18, s13, s15
	s_mov_b64 s[12:13], 0xffffffff
	v_mul_u64_e32 v[12:13], s[18:19], v[8:9]
	s_and_b64 s[12:13], s[2:3], s[12:13]
	v_mul_u64_e32 v[14:15], s[18:19], v[10:11]
	v_mul_u64_e32 v[6:7], s[12:13], v[10:11]
	s_delay_alu instid0(VALU_DEP_3) | instskip(NEXT) | instid1(VALU_DEP_1)
	v_add_nc_u64_e32 v[12:13], v[16:17], v[12:13]
	v_add_co_u32 v1, vcc_lo, v12, v6
	s_delay_alu instid0(VALU_DEP_2) | instskip(SKIP_1) | instid1(VALU_DEP_1)
	v_add_co_ci_u32_e32 v4, vcc_lo, v13, v7, vcc_lo
	v_add_co_ci_u32_e32 v15, vcc_lo, 0, v15, vcc_lo
	v_add_nc_u64_e32 v[4:5], v[4:5], v[14:15]
	s_delay_alu instid0(VALU_DEP_1) | instskip(NEXT) | instid1(VALU_DEP_1)
	v_mul_u64_e32 v[6:7], s[10:11], v[4:5]
	v_sub_nc_u32_e32 v1, v10, v7
	s_delay_alu instid0(VALU_DEP_2) | instskip(NEXT) | instid1(VALU_DEP_1)
	v_sub_co_u32 v6, vcc_lo, v8, v6
	v_sub_co_ci_u32_e64 v10, null, v10, v7, vcc_lo
	s_delay_alu instid0(VALU_DEP_3) | instskip(NEXT) | instid1(VALU_DEP_3)
	v_subrev_co_ci_u32_e64 v1, null, s11, v1, vcc_lo
	v_sub_co_u32 v8, s2, v6, s10
	s_delay_alu instid0(VALU_DEP_1) | instskip(NEXT) | instid1(VALU_DEP_2)
	v_subrev_co_ci_u32_e64 v1, null, 0, v1, s2
	v_cmp_le_u32_e32 vcc_lo, s10, v8
	v_cndmask_b32_e64 v7, 0, -1, vcc_lo
	s_delay_alu instid0(VALU_DEP_3)
	v_cmp_le_u32_e32 vcc_lo, s11, v1
	v_cndmask_b32_e64 v8, 0, -1, vcc_lo
	v_cmp_le_u32_e32 vcc_lo, s10, v6
	v_cndmask_b32_e64 v11, 0, -1, vcc_lo
	;; [unrolled: 2-line block ×3, first 2 shown]
	v_cmp_eq_u32_e32 vcc_lo, s11, v1
	v_cndmask_b32_e32 v1, v8, v7, vcc_lo
	v_cmp_eq_u32_e32 vcc_lo, s11, v10
	v_add_nc_u64_e32 v[6:7], 2, v[4:5]
	v_add_nc_u64_e32 v[8:9], 1, v[4:5]
	v_cndmask_b32_e32 v10, v12, v11, vcc_lo
	v_cmp_ne_u32_e32 vcc_lo, 0, v1
	s_delay_alu instid0(VALU_DEP_2) | instskip(NEXT) | instid1(VALU_DEP_4)
	v_cmp_ne_u32_e64 s2, 0, v10
	v_dual_cndmask_b32 v6, v8, v6 :: v_dual_cndmask_b32 v1, v9, v7
	s_delay_alu instid0(VALU_DEP_1) | instskip(SKIP_1) | instid1(VALU_DEP_2)
	v_dual_cndmask_b32 v4, v4, v6, s2 :: v_dual_cndmask_b32 v5, v5, v1, s2
	v_mov_b32_e32 v1, v0
	v_xor_b32_e32 v4, v4, v0
	s_delay_alu instid0(VALU_DEP_3) | instskip(NEXT) | instid1(VALU_DEP_1)
	v_xor_b32_e32 v5, v5, v0
	v_sub_nc_u64_e32 v[0:1], v[4:5], v[0:1]
.LBB1_3:
	s_and_not1_saveexec_b32 s2, s5
	s_cbranch_execz .LBB1_5
; %bb.4:
	v_cvt_f32_u32_e32 v0, s6
	s_sub_co_i32 s5, 0, s6
	s_delay_alu instid0(VALU_DEP_1) | instskip(SKIP_1) | instid1(TRANS32_DEP_1)
	v_rcp_iflag_f32_e32 v0, v0
	v_nop
	v_mul_f32_e32 v0, 0x4f7ffffe, v0
	s_delay_alu instid0(VALU_DEP_1) | instskip(NEXT) | instid1(VALU_DEP_1)
	v_cvt_u32_f32_e32 v0, v0
	v_mul_lo_u32 v1, s5, v0
	s_delay_alu instid0(VALU_DEP_1) | instskip(NEXT) | instid1(VALU_DEP_1)
	v_mul_hi_u32 v1, v0, v1
	v_add_nc_u32_e32 v0, v0, v1
	s_delay_alu instid0(VALU_DEP_1) | instskip(NEXT) | instid1(VALU_DEP_1)
	v_mul_hi_u32 v0, v2, v0
	v_mul_lo_u32 v1, v0, s6
	s_delay_alu instid0(VALU_DEP_1) | instskip(NEXT) | instid1(VALU_DEP_1)
	v_sub_nc_u32_e32 v1, v2, v1
	v_subrev_nc_u32_e32 v5, s6, v1
	v_cmp_le_u32_e32 vcc_lo, s6, v1
	s_delay_alu instid0(VALU_DEP_2) | instskip(NEXT) | instid1(VALU_DEP_1)
	v_dual_cndmask_b32 v1, v1, v5 :: v_dual_add_nc_u32 v4, 1, v0
	v_cndmask_b32_e32 v0, v0, v4, vcc_lo
	s_delay_alu instid0(VALU_DEP_2) | instskip(NEXT) | instid1(VALU_DEP_2)
	v_cmp_le_u32_e32 vcc_lo, s6, v1
	v_dual_mov_b32 v1, 0 :: v_dual_add_nc_u32 v4, 1, v0
	s_delay_alu instid0(VALU_DEP_1)
	v_cndmask_b32_e32 v0, v0, v4, vcc_lo
.LBB1_5:
	s_or_b32 exec_lo, exec_lo, s2
	s_delay_alu instid0(VALU_DEP_1)
	v_mul_u64_e32 v[4:5], s[6:7], v[0:1]
	s_clause 0x3
	s_load_b64 s[16:17], s[0:1], 0x110
	s_load_b128 s[8:11], s[0:1], 0xf8
	s_load_b32 s18, s[0:1], 0xb0
	s_load_b64 s[20:21], s[0:1], 0xd8
	s_bfe_u32 s5, ttmp6, 0x40010
	s_bfe_u32 s14, ttmp6, 0x40014
	s_and_b32 s2, ttmp7, 0xffff
	s_lshr_b32 s12, ttmp7, 16
	s_add_co_i32 s5, s5, 1
	s_add_co_i32 s14, s14, 1
	s_bfe_u32 s7, ttmp6, 0x40004
	s_bfe_u32 s15, ttmp6, 0x40008
	s_mul_i32 s5, s2, s5
	s_mul_i32 s14, s12, s14
	s_add_co_i32 s7, s7, s5
	s_add_co_i32 s5, s15, s14
	s_cmp_eq_u32 s3, 0
	s_mov_b32 s13, 0
	s_cselect_b32 s12, s12, s5
	s_mov_b32 s15, s13
	s_cselect_b32 s14, s2, s7
	s_add_co_i32 s6, s6, -1
	s_wait_kmcnt 0x0
	s_mul_u64 s[2:3], s[8:9], s[12:13]
	s_sub_co_i32 s7, s18, s17
	s_mul_u64 s[8:9], s[10:11], s[14:15]
	s_lshl_b64 s[2:3], s[2:3], 2
	v_mov_b32_e32 v6, s7
	s_add_nc_u64 s[2:3], s[20:21], s[2:3]
	s_lshl_b64 s[8:9], s[8:9], 2
	s_mov_b32 s5, exec_lo
	s_add_nc_u64 s[2:3], s[2:3], s[8:9]
	v_sub_nc_u64_e32 v[2:3], v[2:3], v[4:5]
	s_delay_alu instid0(VALU_DEP_1)
	v_cmpx_ne_u32_e64 s6, v2
	s_cbranch_execz .LBB1_7
; %bb.6:
	s_cvt_f32_i32 s7, s7
	s_cvt_f32_i32 s6, s6
	s_load_b32 s8, s[2:3], 0x0
	s_delay_alu instid0(SALU_CYCLE_2) | instskip(SKIP_1) | instid1(VALU_DEP_2)
	v_div_scale_f32 v1, null, s6, s6, s7
	v_div_scale_f32 v6, vcc_lo, s7, s6, s7
	v_rcp_f32_e32 v4, v1
	v_nop
	v_xor_b32_e32 v1, 0x80000000, v1
	s_delay_alu instid0(TRANS32_DEP_1) | instid1(VALU_DEP_1)
	v_fma_f32 v5, v1, v4, 1.0
	s_delay_alu instid0(VALU_DEP_1) | instskip(NEXT) | instid1(VALU_DEP_1)
	v_fmac_f32_e32 v4, v5, v4
	v_mul_f32_e32 v5, v6, v4
	s_delay_alu instid0(VALU_DEP_1) | instskip(NEXT) | instid1(VALU_DEP_1)
	v_fma_f32 v7, v1, v5, v6
	v_fmac_f32_e32 v5, v7, v4
	s_delay_alu instid0(VALU_DEP_1) | instskip(SKIP_1) | instid1(VALU_DEP_2)
	v_fmac_f32_e32 v6, v1, v5
	v_cvt_f32_i32_e32 v1, v2
	v_div_fmas_f32 v6, v6, v4, v5
	s_wait_kmcnt 0x0
	s_delay_alu instid0(VALU_DEP_2) | instskip(NEXT) | instid1(VALU_DEP_2)
	v_dual_add_f32 v4, s8, v1 :: v_dual_mov_b32 v5, s8
	v_div_fixup_f32 v6, v6, s6, s7
	s_delay_alu instid0(VALU_DEP_1) | instskip(NEXT) | instid1(VALU_DEP_1)
	v_pk_mul_f32 v[4:5], v[6:7], v[4:5] op_sel_hi:[0,1]
	v_cvt_i32_f32_e32 v1, v5
	s_delay_alu instid0(VALU_DEP_2) | instskip(NEXT) | instid1(VALU_DEP_1)
	v_cvt_i32_f32_e32 v4, v4
	v_sub_nc_u32_e32 v6, v4, v1
.LBB1_7:
	s_or_b32 exec_lo, exec_lo, s5
	s_load_b32 s6, s[0:1], 0xa8
	s_add_co_i32 s5, s4, -1
	s_mov_b32 s4, exec_lo
	s_wait_kmcnt 0x0
	s_sub_co_i32 s6, s6, s16
	s_delay_alu instid0(SALU_CYCLE_1)
	v_mov_b32_e32 v8, s6
	v_cmpx_ne_u32_e64 s5, v0
	s_cbranch_execz .LBB1_9
; %bb.8:
	s_cvt_f32_i32 s8, s6
	s_load_b64 s[6:7], s[0:1], 0x108
	s_cvt_f32_i32 s5, s5
	s_delay_alu instid0(SALU_CYCLE_3) | instskip(SKIP_1) | instid1(VALU_DEP_2)
	v_div_scale_f32 v1, null, s5, s5, s8
	v_div_scale_f32 v7, vcc_lo, s8, s5, s8
	v_rcp_f32_e32 v4, v1
	v_nop
	v_xor_b32_e32 v1, 0x80000000, v1
	s_delay_alu instid0(TRANS32_DEP_1) | instid1(VALU_DEP_1)
	v_fma_f32 v5, v1, v4, 1.0
	s_wait_kmcnt 0x0
	s_lshl_b64 s[6:7], s[6:7], 2
	s_delay_alu instid0(SALU_CYCLE_1) | instskip(SKIP_2) | instid1(VALU_DEP_1)
	s_add_nc_u64 s[2:3], s[2:3], s[6:7]
	s_load_b32 s2, s[2:3], 0x0
	v_fmac_f32_e32 v4, v5, v4
	v_mul_f32_e32 v5, v7, v4
	s_delay_alu instid0(VALU_DEP_1) | instskip(NEXT) | instid1(VALU_DEP_1)
	v_fma_f32 v8, v1, v5, v7
	v_fmac_f32_e32 v5, v8, v4
	s_delay_alu instid0(VALU_DEP_1) | instskip(SKIP_1) | instid1(VALU_DEP_2)
	v_fmac_f32_e32 v7, v1, v5
	v_cvt_f32_i32_e32 v1, v0
	v_div_fmas_f32 v7, v7, v4, v5
	s_wait_kmcnt 0x0
	s_delay_alu instid0(VALU_DEP_2) | instskip(NEXT) | instid1(VALU_DEP_2)
	v_dual_add_f32 v4, s2, v1 :: v_dual_mov_b32 v5, s2
	v_div_fixup_f32 v8, v7, s5, s8
	s_delay_alu instid0(VALU_DEP_1) | instskip(NEXT) | instid1(VALU_DEP_1)
	v_pk_mul_f32 v[4:5], v[8:9], v[4:5] op_sel_hi:[0,1]
	v_cvt_i32_f32_e32 v1, v5
	s_delay_alu instid0(VALU_DEP_2) | instskip(NEXT) | instid1(VALU_DEP_1)
	v_cvt_i32_f32_e32 v4, v4
	v_sub_nc_u32_e32 v8, v4, v1
.LBB1_9:
	s_or_b32 exec_lo, exec_lo, s4
	s_delay_alu instid0(VALU_DEP_1) | instskip(SKIP_1) | instid1(VALU_DEP_1)
	v_mul_lo_u32 v1, v8, s18
	s_cmp_lt_i32 s16, 1
	v_add_nc_u32_e32 v4, v1, v6
	s_cbranch_scc1 .LBB1_23
; %bb.10:
	s_load_b256 s[4:11], s[0:1], 0xb8
	v_dual_ashrrev_i32 v7, 31, v6 :: v_dual_ashrrev_i32 v9, 31, v8
	s_add_co_i32 s2, s17, -8
	v_add_nc_u32_e32 v5, s16, v8
	s_cmp_gt_u32 s2, -7
	s_load_b64 s[2:3], s[0:1], 0x90
	s_cselect_b32 s19, -1, 0
	s_cmp_gt_i32 s17, 0
	v_dual_mov_b32 v15, 0xff800000 :: v_dual_mov_b32 v16, v4
	s_cselect_b32 s20, -1, 0
	s_mov_b32 s16, 0
	s_wait_kmcnt 0x0
	v_mul_u64_e32 v[10:11], s[10:11], v[6:7]
	v_mul_u64_e32 v[12:13], s[8:9], v[8:9]
	s_mul_u64 s[6:7], s[6:7], s[14:15]
	s_mul_u64 s[4:5], s[4:5], s[12:13]
	s_lshl_b64 s[6:7], s[6:7], 2
	s_lshl_b64 s[4:5], s[4:5], 2
	v_add_nc_u32_e32 v7, s17, v6
	s_add_nc_u64 s[4:5], s[4:5], s[6:7]
	v_cndmask_b32_e64 v9, 0, 1, s20
	s_lshl_b64 s[6:7], s[10:11], 2
	s_delay_alu instid0(VALU_DEP_4) | instskip(SKIP_1) | instid1(VALU_DEP_1)
	v_lshl_add_u64 v[10:11], v[10:11], 2, s[4:5]
	s_lshl_b64 s[4:5], s[8:9], 2
	v_lshl_add_u64 v[10:11], v[12:13], 2, v[10:11]
	s_delay_alu instid0(VALU_DEP_1)
	v_add_nc_u64_e32 v[10:11], s[2:3], v[10:11]
	s_branch .LBB1_13
.LBB1_11:                               ;   in Loop: Header=BB1_13 Depth=1
	v_dual_mov_b32 v17, v16 :: v_dual_mov_b32 v14, v15
.LBB1_12:                               ;   in Loop: Header=BB1_13 Depth=1
	v_dual_add_nc_u32 v8, 1, v8 :: v_dual_add_nc_u32 v1, s18, v1
	v_add_nc_u64_e32 v[10:11], s[4:5], v[10:11]
	s_delay_alu instid0(VALU_DEP_3) | instskip(NEXT) | instid1(VALU_DEP_3)
	v_dual_mov_b32 v15, v14 :: v_dual_add_nc_u32 v4, s18, v4
	v_cmp_ge_i32_e32 vcc_lo, v8, v5
	v_mov_b32_e32 v16, v17
	s_or_b32 s16, vcc_lo, s16
	s_delay_alu instid0(SALU_CYCLE_1)
	s_and_not1_b32 exec_lo, exec_lo, s16
	s_cbranch_execz .LBB1_22
.LBB1_13:                               ; =>This Loop Header: Depth=1
                                        ;     Child Loop BB1_15 Depth 2
                                        ;     Child Loop BB1_20 Depth 2
	v_cmp_ne_u32_e64 s2, 1, v9
	s_and_not1_b32 vcc_lo, exec_lo, s19
	s_mov_b32 s3, -1
                                        ; implicit-def: $vgpr14
                                        ; implicit-def: $vgpr17
	s_cbranch_vccnz .LBB1_17
; %bb.14:                               ;   in Loop: Header=BB1_13 Depth=1
	v_mov_b64_e32 v[12:13], v[10:11]
	v_dual_mov_b32 v14, v15 :: v_dual_mov_b32 v17, v16
	v_mov_b32_e32 v18, v4
	s_and_b32 vcc_lo, exec_lo, s2
	s_mov_b32 s3, s17
	s_cbranch_vccnz .LBB1_16
.LBB1_15:                               ;   Parent Loop BB1_13 Depth=1
                                        ; =>  This Inner Loop Header: Depth=2
	global_load_b32 v19, v[12:13], off
	s_wait_xcnt 0x0
	v_add_nc_u64_e32 v[12:13], s[6:7], v[12:13]
	s_add_co_i32 s3, s3, -1
	s_wait_loadcnt 0x0
	v_cmp_gt_f32_e32 vcc_lo, v19, v14
	v_cmp_u_f32_e64 s2, v19, v19
	s_or_b32 vcc_lo, vcc_lo, s2
	s_cmp_lg_u32 s3, 0
	v_dual_cndmask_b32 v17, v17, v18 :: v_dual_add_nc_u32 v18, 1, v18
	v_cndmask_b32_e32 v14, v14, v19, vcc_lo
	s_cbranch_scc1 .LBB1_15
.LBB1_16:                               ;   in Loop: Header=BB1_13 Depth=1
	s_mov_b32 s3, 0
.LBB1_17:                               ;   in Loop: Header=BB1_13 Depth=1
	s_delay_alu instid0(SALU_CYCLE_1)
	s_and_not1_b32 vcc_lo, exec_lo, s3
	s_cbranch_vccnz .LBB1_12
; %bb.18:                               ;   in Loop: Header=BB1_13 Depth=1
	s_and_not1_b32 vcc_lo, exec_lo, s20
	s_cbranch_vccnz .LBB1_11
; %bb.19:                               ;   in Loop: Header=BB1_13 Depth=1
	v_mov_b64_e32 v[12:13], v[10:11]
	v_mov_b32_e32 v14, v6
	s_mov_b32 s8, 0
.LBB1_20:                               ;   Parent Loop BB1_13 Depth=1
                                        ; =>  This Inner Loop Header: Depth=2
	global_load_b32 v17, v[12:13], off
	v_dual_add_nc_u32 v18, v1, v14 :: v_dual_add_nc_u32 v14, 1, v14
	s_wait_xcnt 0x0
	v_add_nc_u64_e32 v[12:13], s[6:7], v[12:13]
	s_delay_alu instid0(VALU_DEP_2)
	v_cmp_ge_i32_e64 s3, v14, v7
	s_wait_loadcnt 0x0
	v_cmp_gt_f32_e32 vcc_lo, v17, v15
	v_cmp_u_f32_e64 s2, v17, v17
	s_or_b32 vcc_lo, vcc_lo, s2
	s_or_b32 s8, s3, s8
	v_dual_cndmask_b32 v16, v16, v18 :: v_dual_cndmask_b32 v15, v15, v17
	s_and_not1_b32 exec_lo, exec_lo, s8
	s_cbranch_execnz .LBB1_20
; %bb.21:                               ;   in Loop: Header=BB1_13 Depth=1
	s_or_b32 exec_lo, exec_lo, s8
	s_branch .LBB1_11
.LBB1_22:
	s_or_b32 exec_lo, exec_lo, s16
	v_mov_b32_e32 v4, v17
	s_branch .LBB1_24
.LBB1_23:
	v_mov_b32_e32 v14, 0xff800000
.LBB1_24:
	s_clause 0x1
	s_load_b256 s[4:11], s[0:1], 0x70
	s_load_b256 s[16:23], s[0:1], 0x28
	v_ashrrev_i32_e32 v1, 31, v0
	v_ashrrev_i32_e32 v5, 31, v4
	s_wait_kmcnt 0x0
	s_delay_alu instid0(VALU_DEP_2)
	v_mul_u64_e32 v[6:7], s[8:9], v[0:1]
	v_mul_u64_e32 v[0:1], s[20:21], v[0:1]
	;; [unrolled: 1-line block ×4, first 2 shown]
	s_clause 0x1
	s_load_b64 s[2:3], s[0:1], 0x48
	s_load_b64 s[8:9], s[0:1], 0x0
	s_wait_xcnt 0x0
	s_mul_u64 s[0:1], s[4:5], s[12:13]
	s_mul_u64 s[4:5], s[6:7], s[14:15]
	;; [unrolled: 1-line block ×3, first 2 shown]
	s_lshl_b64 s[0:1], s[0:1], 3
	s_mul_u64 s[10:11], s[18:19], s[14:15]
	s_lshl_b64 s[6:7], s[6:7], 2
	s_lshl_b64 s[4:5], s[4:5], 3
	;; [unrolled: 1-line block ×3, first 2 shown]
	s_wait_kmcnt 0x0
	s_add_nc_u64 s[0:1], s[2:3], s[0:1]
	s_add_nc_u64 s[2:3], s[8:9], s[6:7]
	;; [unrolled: 1-line block ×4, first 2 shown]
	s_delay_alu instid0(VALU_DEP_4) | instskip(NEXT) | instid1(VALU_DEP_4)
	v_lshl_add_u64 v[6:7], v[6:7], 3, s[0:1]
	v_lshl_add_u64 v[0:1], v[0:1], 2, s[2:3]
	s_delay_alu instid0(VALU_DEP_2) | instskip(NEXT) | instid1(VALU_DEP_2)
	v_lshl_add_u64 v[6:7], v[8:9], 3, v[6:7]
	v_lshl_add_u64 v[0:1], v[2:3], 2, v[0:1]
	global_store_b64 v[6:7], v[4:5], off
	global_store_b32 v[0:1], v14, off
.LBB1_25:
	s_endpgm
	.section	.rodata,"a",@progbits
	.p2align	6, 0x0
	.amdhsa_kernel _ZN2at6native12_GLOBAL__N_136fractional_max_pool2d_out_cuda_frameIfEEvN5torch10headeronly6detail27GenericPackedTensorAccessorINS5_14TensorAccessorIN3c108ArrayRefIlEET_Lm3ENS4_16DefaultPtrTraitsElEENS_6detail16IndexBoundsCheckILm4ElEESB_Lm4ESC_lEENS6_INS7_ISA_lLm3ESC_lEESG_lLm4ESC_lEENS6_INS7_ISA_KSB_Lm3ESC_lEESG_SK_Lm4ESC_lEENS6_INS7_ISA_SK_Lm2ESC_lEENSF_ILm3ElEESK_Lm3ESC_lEEii
		.amdhsa_group_segment_fixed_size 0
		.amdhsa_private_segment_fixed_size 0
		.amdhsa_kernarg_size 536
		.amdhsa_user_sgpr_count 2
		.amdhsa_user_sgpr_dispatch_ptr 0
		.amdhsa_user_sgpr_queue_ptr 0
		.amdhsa_user_sgpr_kernarg_segment_ptr 1
		.amdhsa_user_sgpr_dispatch_id 0
		.amdhsa_user_sgpr_kernarg_preload_length 0
		.amdhsa_user_sgpr_kernarg_preload_offset 0
		.amdhsa_user_sgpr_private_segment_size 0
		.amdhsa_wavefront_size32 1
		.amdhsa_uses_dynamic_stack 0
		.amdhsa_enable_private_segment 0
		.amdhsa_system_sgpr_workgroup_id_x 1
		.amdhsa_system_sgpr_workgroup_id_y 1
		.amdhsa_system_sgpr_workgroup_id_z 1
		.amdhsa_system_sgpr_workgroup_info 0
		.amdhsa_system_vgpr_workitem_id 0
		.amdhsa_next_free_vgpr 20
		.amdhsa_next_free_sgpr 24
		.amdhsa_named_barrier_count 0
		.amdhsa_reserve_vcc 1
		.amdhsa_float_round_mode_32 0
		.amdhsa_float_round_mode_16_64 0
		.amdhsa_float_denorm_mode_32 3
		.amdhsa_float_denorm_mode_16_64 3
		.amdhsa_fp16_overflow 0
		.amdhsa_memory_ordered 1
		.amdhsa_forward_progress 1
		.amdhsa_inst_pref_size 17
		.amdhsa_round_robin_scheduling 0
		.amdhsa_exception_fp_ieee_invalid_op 0
		.amdhsa_exception_fp_denorm_src 0
		.amdhsa_exception_fp_ieee_div_zero 0
		.amdhsa_exception_fp_ieee_overflow 0
		.amdhsa_exception_fp_ieee_underflow 0
		.amdhsa_exception_fp_ieee_inexact 0
		.amdhsa_exception_int_div_zero 0
	.end_amdhsa_kernel
	.section	.text._ZN2at6native12_GLOBAL__N_136fractional_max_pool2d_out_cuda_frameIfEEvN5torch10headeronly6detail27GenericPackedTensorAccessorINS5_14TensorAccessorIN3c108ArrayRefIlEET_Lm3ENS4_16DefaultPtrTraitsElEENS_6detail16IndexBoundsCheckILm4ElEESB_Lm4ESC_lEENS6_INS7_ISA_lLm3ESC_lEESG_lLm4ESC_lEENS6_INS7_ISA_KSB_Lm3ESC_lEESG_SK_Lm4ESC_lEENS6_INS7_ISA_SK_Lm2ESC_lEENSF_ILm3ElEESK_Lm3ESC_lEEii,"axG",@progbits,_ZN2at6native12_GLOBAL__N_136fractional_max_pool2d_out_cuda_frameIfEEvN5torch10headeronly6detail27GenericPackedTensorAccessorINS5_14TensorAccessorIN3c108ArrayRefIlEET_Lm3ENS4_16DefaultPtrTraitsElEENS_6detail16IndexBoundsCheckILm4ElEESB_Lm4ESC_lEENS6_INS7_ISA_lLm3ESC_lEESG_lLm4ESC_lEENS6_INS7_ISA_KSB_Lm3ESC_lEESG_SK_Lm4ESC_lEENS6_INS7_ISA_SK_Lm2ESC_lEENSF_ILm3ElEESK_Lm3ESC_lEEii,comdat
.Lfunc_end1:
	.size	_ZN2at6native12_GLOBAL__N_136fractional_max_pool2d_out_cuda_frameIfEEvN5torch10headeronly6detail27GenericPackedTensorAccessorINS5_14TensorAccessorIN3c108ArrayRefIlEET_Lm3ENS4_16DefaultPtrTraitsElEENS_6detail16IndexBoundsCheckILm4ElEESB_Lm4ESC_lEENS6_INS7_ISA_lLm3ESC_lEESG_lLm4ESC_lEENS6_INS7_ISA_KSB_Lm3ESC_lEESG_SK_Lm4ESC_lEENS6_INS7_ISA_SK_Lm2ESC_lEENSF_ILm3ElEESK_Lm3ESC_lEEii, .Lfunc_end1-_ZN2at6native12_GLOBAL__N_136fractional_max_pool2d_out_cuda_frameIfEEvN5torch10headeronly6detail27GenericPackedTensorAccessorINS5_14TensorAccessorIN3c108ArrayRefIlEET_Lm3ENS4_16DefaultPtrTraitsElEENS_6detail16IndexBoundsCheckILm4ElEESB_Lm4ESC_lEENS6_INS7_ISA_lLm3ESC_lEESG_lLm4ESC_lEENS6_INS7_ISA_KSB_Lm3ESC_lEESG_SK_Lm4ESC_lEENS6_INS7_ISA_SK_Lm2ESC_lEENSF_ILm3ElEESK_Lm3ESC_lEEii
                                        ; -- End function
	.set _ZN2at6native12_GLOBAL__N_136fractional_max_pool2d_out_cuda_frameIfEEvN5torch10headeronly6detail27GenericPackedTensorAccessorINS5_14TensorAccessorIN3c108ArrayRefIlEET_Lm3ENS4_16DefaultPtrTraitsElEENS_6detail16IndexBoundsCheckILm4ElEESB_Lm4ESC_lEENS6_INS7_ISA_lLm3ESC_lEESG_lLm4ESC_lEENS6_INS7_ISA_KSB_Lm3ESC_lEESG_SK_Lm4ESC_lEENS6_INS7_ISA_SK_Lm2ESC_lEENSF_ILm3ElEESK_Lm3ESC_lEEii.num_vgpr, 20
	.set _ZN2at6native12_GLOBAL__N_136fractional_max_pool2d_out_cuda_frameIfEEvN5torch10headeronly6detail27GenericPackedTensorAccessorINS5_14TensorAccessorIN3c108ArrayRefIlEET_Lm3ENS4_16DefaultPtrTraitsElEENS_6detail16IndexBoundsCheckILm4ElEESB_Lm4ESC_lEENS6_INS7_ISA_lLm3ESC_lEESG_lLm4ESC_lEENS6_INS7_ISA_KSB_Lm3ESC_lEESG_SK_Lm4ESC_lEENS6_INS7_ISA_SK_Lm2ESC_lEENSF_ILm3ElEESK_Lm3ESC_lEEii.num_agpr, 0
	.set _ZN2at6native12_GLOBAL__N_136fractional_max_pool2d_out_cuda_frameIfEEvN5torch10headeronly6detail27GenericPackedTensorAccessorINS5_14TensorAccessorIN3c108ArrayRefIlEET_Lm3ENS4_16DefaultPtrTraitsElEENS_6detail16IndexBoundsCheckILm4ElEESB_Lm4ESC_lEENS6_INS7_ISA_lLm3ESC_lEESG_lLm4ESC_lEENS6_INS7_ISA_KSB_Lm3ESC_lEESG_SK_Lm4ESC_lEENS6_INS7_ISA_SK_Lm2ESC_lEENSF_ILm3ElEESK_Lm3ESC_lEEii.numbered_sgpr, 24
	.set _ZN2at6native12_GLOBAL__N_136fractional_max_pool2d_out_cuda_frameIfEEvN5torch10headeronly6detail27GenericPackedTensorAccessorINS5_14TensorAccessorIN3c108ArrayRefIlEET_Lm3ENS4_16DefaultPtrTraitsElEENS_6detail16IndexBoundsCheckILm4ElEESB_Lm4ESC_lEENS6_INS7_ISA_lLm3ESC_lEESG_lLm4ESC_lEENS6_INS7_ISA_KSB_Lm3ESC_lEESG_SK_Lm4ESC_lEENS6_INS7_ISA_SK_Lm2ESC_lEENSF_ILm3ElEESK_Lm3ESC_lEEii.num_named_barrier, 0
	.set _ZN2at6native12_GLOBAL__N_136fractional_max_pool2d_out_cuda_frameIfEEvN5torch10headeronly6detail27GenericPackedTensorAccessorINS5_14TensorAccessorIN3c108ArrayRefIlEET_Lm3ENS4_16DefaultPtrTraitsElEENS_6detail16IndexBoundsCheckILm4ElEESB_Lm4ESC_lEENS6_INS7_ISA_lLm3ESC_lEESG_lLm4ESC_lEENS6_INS7_ISA_KSB_Lm3ESC_lEESG_SK_Lm4ESC_lEENS6_INS7_ISA_SK_Lm2ESC_lEENSF_ILm3ElEESK_Lm3ESC_lEEii.private_seg_size, 0
	.set _ZN2at6native12_GLOBAL__N_136fractional_max_pool2d_out_cuda_frameIfEEvN5torch10headeronly6detail27GenericPackedTensorAccessorINS5_14TensorAccessorIN3c108ArrayRefIlEET_Lm3ENS4_16DefaultPtrTraitsElEENS_6detail16IndexBoundsCheckILm4ElEESB_Lm4ESC_lEENS6_INS7_ISA_lLm3ESC_lEESG_lLm4ESC_lEENS6_INS7_ISA_KSB_Lm3ESC_lEESG_SK_Lm4ESC_lEENS6_INS7_ISA_SK_Lm2ESC_lEENSF_ILm3ElEESK_Lm3ESC_lEEii.uses_vcc, 1
	.set _ZN2at6native12_GLOBAL__N_136fractional_max_pool2d_out_cuda_frameIfEEvN5torch10headeronly6detail27GenericPackedTensorAccessorINS5_14TensorAccessorIN3c108ArrayRefIlEET_Lm3ENS4_16DefaultPtrTraitsElEENS_6detail16IndexBoundsCheckILm4ElEESB_Lm4ESC_lEENS6_INS7_ISA_lLm3ESC_lEESG_lLm4ESC_lEENS6_INS7_ISA_KSB_Lm3ESC_lEESG_SK_Lm4ESC_lEENS6_INS7_ISA_SK_Lm2ESC_lEENSF_ILm3ElEESK_Lm3ESC_lEEii.uses_flat_scratch, 0
	.set _ZN2at6native12_GLOBAL__N_136fractional_max_pool2d_out_cuda_frameIfEEvN5torch10headeronly6detail27GenericPackedTensorAccessorINS5_14TensorAccessorIN3c108ArrayRefIlEET_Lm3ENS4_16DefaultPtrTraitsElEENS_6detail16IndexBoundsCheckILm4ElEESB_Lm4ESC_lEENS6_INS7_ISA_lLm3ESC_lEESG_lLm4ESC_lEENS6_INS7_ISA_KSB_Lm3ESC_lEESG_SK_Lm4ESC_lEENS6_INS7_ISA_SK_Lm2ESC_lEENSF_ILm3ElEESK_Lm3ESC_lEEii.has_dyn_sized_stack, 0
	.set _ZN2at6native12_GLOBAL__N_136fractional_max_pool2d_out_cuda_frameIfEEvN5torch10headeronly6detail27GenericPackedTensorAccessorINS5_14TensorAccessorIN3c108ArrayRefIlEET_Lm3ENS4_16DefaultPtrTraitsElEENS_6detail16IndexBoundsCheckILm4ElEESB_Lm4ESC_lEENS6_INS7_ISA_lLm3ESC_lEESG_lLm4ESC_lEENS6_INS7_ISA_KSB_Lm3ESC_lEESG_SK_Lm4ESC_lEENS6_INS7_ISA_SK_Lm2ESC_lEENSF_ILm3ElEESK_Lm3ESC_lEEii.has_recursion, 0
	.set _ZN2at6native12_GLOBAL__N_136fractional_max_pool2d_out_cuda_frameIfEEvN5torch10headeronly6detail27GenericPackedTensorAccessorINS5_14TensorAccessorIN3c108ArrayRefIlEET_Lm3ENS4_16DefaultPtrTraitsElEENS_6detail16IndexBoundsCheckILm4ElEESB_Lm4ESC_lEENS6_INS7_ISA_lLm3ESC_lEESG_lLm4ESC_lEENS6_INS7_ISA_KSB_Lm3ESC_lEESG_SK_Lm4ESC_lEENS6_INS7_ISA_SK_Lm2ESC_lEENSF_ILm3ElEESK_Lm3ESC_lEEii.has_indirect_call, 0
	.section	.AMDGPU.csdata,"",@progbits
; Kernel info:
; codeLenInByte = 2144
; TotalNumSgprs: 26
; NumVgprs: 20
; ScratchSize: 0
; MemoryBound: 0
; FloatMode: 240
; IeeeMode: 1
; LDSByteSize: 0 bytes/workgroup (compile time only)
; SGPRBlocks: 0
; VGPRBlocks: 1
; NumSGPRsForWavesPerEU: 26
; NumVGPRsForWavesPerEU: 20
; NamedBarCnt: 0
; Occupancy: 16
; WaveLimiterHint : 1
; COMPUTE_PGM_RSRC2:SCRATCH_EN: 0
; COMPUTE_PGM_RSRC2:USER_SGPR: 2
; COMPUTE_PGM_RSRC2:TRAP_HANDLER: 0
; COMPUTE_PGM_RSRC2:TGID_X_EN: 1
; COMPUTE_PGM_RSRC2:TGID_Y_EN: 1
; COMPUTE_PGM_RSRC2:TGID_Z_EN: 1
; COMPUTE_PGM_RSRC2:TIDIG_COMP_CNT: 0
	.section	.text._ZN2at6native12_GLOBAL__N_136fractional_max_pool2d_out_cuda_frameIN3c104HalfEEEvN5torch10headeronly6detail27GenericPackedTensorAccessorINS7_14TensorAccessorINS3_8ArrayRefIlEET_Lm3ENS6_16DefaultPtrTraitsElEENS_6detail16IndexBoundsCheckILm4ElEESC_Lm4ESD_lEENS8_INS9_ISB_lLm3ESD_lEESH_lLm4ESD_lEENS8_INS9_ISB_KSC_Lm3ESD_lEESH_SL_Lm4ESD_lEENS8_INS9_ISB_SL_Lm2ESD_lEENSG_ILm3ElEESL_Lm3ESD_lEEii,"axG",@progbits,_ZN2at6native12_GLOBAL__N_136fractional_max_pool2d_out_cuda_frameIN3c104HalfEEEvN5torch10headeronly6detail27GenericPackedTensorAccessorINS7_14TensorAccessorINS3_8ArrayRefIlEET_Lm3ENS6_16DefaultPtrTraitsElEENS_6detail16IndexBoundsCheckILm4ElEESC_Lm4ESD_lEENS8_INS9_ISB_lLm3ESD_lEESH_lLm4ESD_lEENS8_INS9_ISB_KSC_Lm3ESD_lEESH_SL_Lm4ESD_lEENS8_INS9_ISB_SL_Lm2ESD_lEENSG_ILm3ElEESL_Lm3ESD_lEEii,comdat
	.globl	_ZN2at6native12_GLOBAL__N_136fractional_max_pool2d_out_cuda_frameIN3c104HalfEEEvN5torch10headeronly6detail27GenericPackedTensorAccessorINS7_14TensorAccessorINS3_8ArrayRefIlEET_Lm3ENS6_16DefaultPtrTraitsElEENS_6detail16IndexBoundsCheckILm4ElEESC_Lm4ESD_lEENS8_INS9_ISB_lLm3ESD_lEESH_lLm4ESD_lEENS8_INS9_ISB_KSC_Lm3ESD_lEESH_SL_Lm4ESD_lEENS8_INS9_ISB_SL_Lm2ESD_lEENSG_ILm3ElEESL_Lm3ESD_lEEii ; -- Begin function _ZN2at6native12_GLOBAL__N_136fractional_max_pool2d_out_cuda_frameIN3c104HalfEEEvN5torch10headeronly6detail27GenericPackedTensorAccessorINS7_14TensorAccessorINS3_8ArrayRefIlEET_Lm3ENS6_16DefaultPtrTraitsElEENS_6detail16IndexBoundsCheckILm4ElEESC_Lm4ESD_lEENS8_INS9_ISB_lLm3ESD_lEESH_lLm4ESD_lEENS8_INS9_ISB_KSC_Lm3ESD_lEESH_SL_Lm4ESD_lEENS8_INS9_ISB_SL_Lm2ESD_lEENSG_ILm3ElEESL_Lm3ESD_lEEii
	.p2align	8
	.type	_ZN2at6native12_GLOBAL__N_136fractional_max_pool2d_out_cuda_frameIN3c104HalfEEEvN5torch10headeronly6detail27GenericPackedTensorAccessorINS7_14TensorAccessorINS3_8ArrayRefIlEET_Lm3ENS6_16DefaultPtrTraitsElEENS_6detail16IndexBoundsCheckILm4ElEESC_Lm4ESD_lEENS8_INS9_ISB_lLm3ESD_lEESH_lLm4ESD_lEENS8_INS9_ISB_KSC_Lm3ESD_lEESH_SL_Lm4ESD_lEENS8_INS9_ISB_SL_Lm2ESD_lEENSG_ILm3ElEESL_Lm3ESD_lEEii,@function
_ZN2at6native12_GLOBAL__N_136fractional_max_pool2d_out_cuda_frameIN3c104HalfEEEvN5torch10headeronly6detail27GenericPackedTensorAccessorINS7_14TensorAccessorINS3_8ArrayRefIlEET_Lm3ENS6_16DefaultPtrTraitsElEENS_6detail16IndexBoundsCheckILm4ElEESC_Lm4ESD_lEENS8_INS9_ISB_lLm3ESD_lEESH_lLm4ESD_lEENS8_INS9_ISB_KSC_Lm3ESD_lEESH_SL_Lm4ESD_lEENS8_INS9_ISB_SL_Lm2ESD_lEENSG_ILm3ElEESL_Lm3ESD_lEEii: ; @_ZN2at6native12_GLOBAL__N_136fractional_max_pool2d_out_cuda_frameIN3c104HalfEEEvN5torch10headeronly6detail27GenericPackedTensorAccessorINS7_14TensorAccessorINS3_8ArrayRefIlEET_Lm3ENS6_16DefaultPtrTraitsElEENS_6detail16IndexBoundsCheckILm4ElEESC_Lm4ESD_lEENS8_INS9_ISB_lLm3ESD_lEESH_lLm4ESD_lEENS8_INS9_ISB_KSC_Lm3ESD_lEESH_SL_Lm4ESD_lEENS8_INS9_ISB_SL_Lm2ESD_lEENSG_ILm3ElEESL_Lm3ESD_lEEii
; %bb.0:
	s_load_b32 s2, s[0:1], 0x124
	s_bfe_u32 s4, ttmp6, 0x4000c
	s_and_b32 s8, ttmp6, 15
	s_add_co_i32 s9, s4, 1
	s_getreg_b32 s3, hwreg(HW_REG_IB_STS2, 6, 4)
	s_mul_i32 s9, ttmp9, s9
	s_load_b128 s[4:7], s[0:1], 0x18
	s_add_co_i32 s8, s8, s9
	s_wait_kmcnt 0x0
	s_and_b32 s2, s2, 0xffff
	s_cmp_eq_u32 s3, 0
	s_cselect_b32 s8, ttmp9, s8
	s_delay_alu instid0(SALU_CYCLE_1) | instskip(SKIP_2) | instid1(VALU_DEP_1)
	v_mad_u32 v2, s8, s2, v0
	s_mul_u64 s[8:9], s[6:7], s[4:5]
	s_mov_b32 s2, exec_lo
	v_ashrrev_i32_e32 v3, 31, v2
	s_delay_alu instid0(VALU_DEP_1)
	v_cmpx_gt_i64_e64 s[8:9], v[2:3]
	s_cbranch_execz .LBB2_25
; %bb.1:
	v_dual_mov_b32 v4, 0 :: v_dual_bitop2_b32 v5, s7, v3 bitop3:0x54
                                        ; implicit-def: $vgpr0_vgpr1
	s_mov_b32 s2, exec_lo
	s_delay_alu instid0(VALU_DEP_1)
	v_cmpx_ne_u64_e32 0, v[4:5]
	s_xor_b32 s5, exec_lo, s2
	s_cbranch_execz .LBB2_3
; %bb.2:
	s_ashr_i32 s8, s7, 31
	s_mov_b32 s19, 0
	s_mov_b32 s9, s8
	v_dual_mov_b32 v9, v4 :: v_dual_ashrrev_i32 v0, 31, v3
	s_add_nc_u64 s[10:11], s[6:7], s[8:9]
	v_dual_mov_b32 v17, v4 :: v_dual_mov_b32 v5, v4
	s_xor_b64 s[10:11], s[10:11], s[8:9]
	s_delay_alu instid0(VALU_DEP_2) | instskip(SKIP_3) | instid1(VALU_DEP_1)
	v_mov_b32_e32 v1, v0
	s_cvt_f32_u32 s2, s10
	s_cvt_f32_u32 s9, s11
	s_sub_nc_u64 s[14:15], 0, s[10:11]
	v_add_nc_u64_e32 v[6:7], v[2:3], v[0:1]
	s_delay_alu instid0(SALU_CYCLE_1) | instskip(SKIP_1) | instid1(SALU_CYCLE_2)
	s_fmamk_f32 s2, s9, 0x4f800000, s2
	v_mov_b32_e32 v11, v4
	v_s_rcp_f32 s2, s2
	s_delay_alu instid0(VALU_DEP_2) | instskip(NEXT) | instid1(VALU_DEP_3)
	v_xor_b32_e32 v8, v6, v0
	v_xor_b32_e32 v10, v7, v0
	;; [unrolled: 1-line block ×3, first 2 shown]
	s_delay_alu instid0(TRANS32_DEP_1) | instskip(NEXT) | instid1(SALU_CYCLE_3)
	s_mul_f32 s2, s2, 0x5f7ffffc
	s_mul_f32 s9, s2, 0x2f800000
	s_delay_alu instid0(SALU_CYCLE_3) | instskip(NEXT) | instid1(SALU_CYCLE_3)
	s_trunc_f32 s9, s9
	s_fmamk_f32 s2, s9, 0xcf800000, s2
	s_cvt_u32_f32 s13, s9
	s_delay_alu instid0(SALU_CYCLE_2) | instskip(NEXT) | instid1(SALU_CYCLE_3)
	s_cvt_u32_f32 s12, s2
	s_mul_u64 s[16:17], s[14:15], s[12:13]
	s_delay_alu instid0(SALU_CYCLE_1)
	s_mul_hi_u32 s21, s12, s17
	s_mul_i32 s20, s12, s17
	s_mul_hi_u32 s18, s12, s16
	s_mul_i32 s9, s13, s16
	s_add_nc_u64 s[20:21], s[18:19], s[20:21]
	s_mul_hi_u32 s2, s13, s16
	s_mul_hi_u32 s22, s13, s17
	s_add_co_u32 s9, s20, s9
	s_add_co_ci_u32 s18, s21, s2
	s_mul_i32 s16, s13, s17
	s_add_co_ci_u32 s17, s22, 0
	s_delay_alu instid0(SALU_CYCLE_1) | instskip(NEXT) | instid1(SALU_CYCLE_1)
	s_add_nc_u64 s[16:17], s[18:19], s[16:17]
	s_add_co_u32 s12, s12, s16
	s_cselect_b32 s2, -1, 0
	s_delay_alu instid0(SALU_CYCLE_1) | instskip(SKIP_1) | instid1(SALU_CYCLE_1)
	s_cmp_lg_u32 s2, 0
	s_add_co_ci_u32 s13, s13, s17
	s_mul_u64 s[14:15], s[14:15], s[12:13]
	s_delay_alu instid0(SALU_CYCLE_1)
	s_mul_hi_u32 s17, s12, s15
	s_mul_i32 s16, s12, s15
	s_mul_hi_u32 s18, s12, s14
	s_mul_i32 s9, s13, s14
	s_add_nc_u64 s[16:17], s[18:19], s[16:17]
	s_mul_hi_u32 s2, s13, s14
	s_mul_hi_u32 s20, s13, s15
	s_add_co_u32 s9, s16, s9
	s_add_co_ci_u32 s18, s17, s2
	s_mul_i32 s14, s13, s15
	s_add_co_ci_u32 s15, s20, 0
	s_delay_alu instid0(SALU_CYCLE_1) | instskip(NEXT) | instid1(SALU_CYCLE_1)
	s_add_nc_u64 s[14:15], s[18:19], s[14:15]
	s_add_co_u32 s2, s12, s14
	s_cselect_b32 s9, -1, 0
	v_mul_hi_u32 v16, v8, s2
	s_cmp_lg_u32 s9, 0
	s_add_co_ci_u32 s18, s13, s15
	s_mov_b64 s[12:13], 0xffffffff
	v_mul_u64_e32 v[12:13], s[18:19], v[8:9]
	s_and_b64 s[12:13], s[2:3], s[12:13]
	v_mul_u64_e32 v[14:15], s[18:19], v[10:11]
	v_mul_u64_e32 v[6:7], s[12:13], v[10:11]
	s_delay_alu instid0(VALU_DEP_3) | instskip(NEXT) | instid1(VALU_DEP_1)
	v_add_nc_u64_e32 v[12:13], v[16:17], v[12:13]
	v_add_co_u32 v1, vcc_lo, v12, v6
	s_delay_alu instid0(VALU_DEP_2) | instskip(SKIP_1) | instid1(VALU_DEP_1)
	v_add_co_ci_u32_e32 v4, vcc_lo, v13, v7, vcc_lo
	v_add_co_ci_u32_e32 v15, vcc_lo, 0, v15, vcc_lo
	v_add_nc_u64_e32 v[4:5], v[4:5], v[14:15]
	s_delay_alu instid0(VALU_DEP_1) | instskip(NEXT) | instid1(VALU_DEP_1)
	v_mul_u64_e32 v[6:7], s[10:11], v[4:5]
	v_sub_nc_u32_e32 v1, v10, v7
	s_delay_alu instid0(VALU_DEP_2) | instskip(NEXT) | instid1(VALU_DEP_1)
	v_sub_co_u32 v6, vcc_lo, v8, v6
	v_sub_co_ci_u32_e64 v10, null, v10, v7, vcc_lo
	s_delay_alu instid0(VALU_DEP_3) | instskip(NEXT) | instid1(VALU_DEP_3)
	v_subrev_co_ci_u32_e64 v1, null, s11, v1, vcc_lo
	v_sub_co_u32 v8, s2, v6, s10
	s_delay_alu instid0(VALU_DEP_1) | instskip(NEXT) | instid1(VALU_DEP_2)
	v_subrev_co_ci_u32_e64 v1, null, 0, v1, s2
	v_cmp_le_u32_e32 vcc_lo, s10, v8
	v_cndmask_b32_e64 v7, 0, -1, vcc_lo
	s_delay_alu instid0(VALU_DEP_3)
	v_cmp_le_u32_e32 vcc_lo, s11, v1
	v_cndmask_b32_e64 v8, 0, -1, vcc_lo
	v_cmp_le_u32_e32 vcc_lo, s10, v6
	v_cndmask_b32_e64 v11, 0, -1, vcc_lo
	;; [unrolled: 2-line block ×3, first 2 shown]
	v_cmp_eq_u32_e32 vcc_lo, s11, v1
	v_cndmask_b32_e32 v1, v8, v7, vcc_lo
	v_cmp_eq_u32_e32 vcc_lo, s11, v10
	v_add_nc_u64_e32 v[6:7], 2, v[4:5]
	v_add_nc_u64_e32 v[8:9], 1, v[4:5]
	v_cndmask_b32_e32 v10, v12, v11, vcc_lo
	v_cmp_ne_u32_e32 vcc_lo, 0, v1
	s_delay_alu instid0(VALU_DEP_2) | instskip(NEXT) | instid1(VALU_DEP_4)
	v_cmp_ne_u32_e64 s2, 0, v10
	v_dual_cndmask_b32 v6, v8, v6 :: v_dual_cndmask_b32 v1, v9, v7
	s_delay_alu instid0(VALU_DEP_1) | instskip(SKIP_1) | instid1(VALU_DEP_2)
	v_dual_cndmask_b32 v4, v4, v6, s2 :: v_dual_cndmask_b32 v5, v5, v1, s2
	v_mov_b32_e32 v1, v0
	v_xor_b32_e32 v4, v4, v0
	s_delay_alu instid0(VALU_DEP_3) | instskip(NEXT) | instid1(VALU_DEP_1)
	v_xor_b32_e32 v5, v5, v0
	v_sub_nc_u64_e32 v[0:1], v[4:5], v[0:1]
.LBB2_3:
	s_and_not1_saveexec_b32 s2, s5
	s_cbranch_execz .LBB2_5
; %bb.4:
	v_cvt_f32_u32_e32 v0, s6
	s_sub_co_i32 s5, 0, s6
	s_delay_alu instid0(VALU_DEP_1) | instskip(SKIP_1) | instid1(TRANS32_DEP_1)
	v_rcp_iflag_f32_e32 v0, v0
	v_nop
	v_mul_f32_e32 v0, 0x4f7ffffe, v0
	s_delay_alu instid0(VALU_DEP_1) | instskip(NEXT) | instid1(VALU_DEP_1)
	v_cvt_u32_f32_e32 v0, v0
	v_mul_lo_u32 v1, s5, v0
	s_delay_alu instid0(VALU_DEP_1) | instskip(NEXT) | instid1(VALU_DEP_1)
	v_mul_hi_u32 v1, v0, v1
	v_add_nc_u32_e32 v0, v0, v1
	s_delay_alu instid0(VALU_DEP_1) | instskip(NEXT) | instid1(VALU_DEP_1)
	v_mul_hi_u32 v0, v2, v0
	v_mul_lo_u32 v1, v0, s6
	s_delay_alu instid0(VALU_DEP_1) | instskip(NEXT) | instid1(VALU_DEP_1)
	v_sub_nc_u32_e32 v1, v2, v1
	v_subrev_nc_u32_e32 v5, s6, v1
	v_cmp_le_u32_e32 vcc_lo, s6, v1
	s_delay_alu instid0(VALU_DEP_2) | instskip(NEXT) | instid1(VALU_DEP_1)
	v_dual_cndmask_b32 v1, v1, v5 :: v_dual_add_nc_u32 v4, 1, v0
	v_cndmask_b32_e32 v0, v0, v4, vcc_lo
	s_delay_alu instid0(VALU_DEP_2) | instskip(NEXT) | instid1(VALU_DEP_2)
	v_cmp_le_u32_e32 vcc_lo, s6, v1
	v_dual_mov_b32 v1, 0 :: v_dual_add_nc_u32 v4, 1, v0
	s_delay_alu instid0(VALU_DEP_1)
	v_cndmask_b32_e32 v0, v0, v4, vcc_lo
.LBB2_5:
	s_or_b32 exec_lo, exec_lo, s2
	s_delay_alu instid0(VALU_DEP_1)
	v_mul_u64_e32 v[4:5], s[6:7], v[0:1]
	s_clause 0x3
	s_load_b64 s[16:17], s[0:1], 0x110
	s_load_b128 s[8:11], s[0:1], 0xf8
	s_load_b32 s18, s[0:1], 0xb0
	s_load_b64 s[20:21], s[0:1], 0xd8
	s_bfe_u32 s5, ttmp6, 0x40010
	s_bfe_u32 s14, ttmp6, 0x40014
	s_and_b32 s2, ttmp7, 0xffff
	s_lshr_b32 s12, ttmp7, 16
	s_add_co_i32 s5, s5, 1
	s_add_co_i32 s14, s14, 1
	s_bfe_u32 s7, ttmp6, 0x40004
	s_bfe_u32 s15, ttmp6, 0x40008
	s_mul_i32 s5, s2, s5
	s_mul_i32 s14, s12, s14
	s_add_co_i32 s7, s7, s5
	s_add_co_i32 s5, s15, s14
	s_cmp_eq_u32 s3, 0
	s_mov_b32 s13, 0
	s_cselect_b32 s12, s12, s5
	s_mov_b32 s15, s13
	s_cselect_b32 s14, s2, s7
	s_add_co_i32 s6, s6, -1
	s_wait_kmcnt 0x0
	s_mul_u64 s[2:3], s[8:9], s[12:13]
	s_sub_co_i32 s7, s18, s17
	s_mul_u64 s[8:9], s[10:11], s[14:15]
	s_lshl_b64 s[2:3], s[2:3], 1
	v_mov_b32_e32 v6, s7
	s_add_nc_u64 s[2:3], s[20:21], s[2:3]
	s_lshl_b64 s[8:9], s[8:9], 1
	s_mov_b32 s5, exec_lo
	s_add_nc_u64 s[2:3], s[2:3], s[8:9]
	v_sub_nc_u64_e32 v[2:3], v[2:3], v[4:5]
	s_delay_alu instid0(VALU_DEP_1)
	v_cmpx_ne_u32_e64 s6, v2
	s_cbranch_execz .LBB2_7
; %bb.6:
	s_cvt_f32_i32 s7, s7
	s_cvt_f32_i32 s6, s6
	s_delay_alu instid0(SALU_CYCLE_3) | instskip(SKIP_1) | instid1(VALU_DEP_2)
	v_div_scale_f32 v4, null, s6, s6, s7
	v_div_scale_f32 v7, vcc_lo, s7, s6, s7
	v_rcp_f32_e32 v5, v4
	v_nop
	v_xor_b32_e32 v4, 0x80000000, v4
	s_delay_alu instid0(TRANS32_DEP_1) | instid1(VALU_DEP_1)
	v_fma_f32 v6, v4, v5, 1.0
	s_delay_alu instid0(VALU_DEP_1) | instskip(SKIP_2) | instid1(VALU_DEP_1)
	v_dual_mov_b32 v1, 0 :: v_dual_fmac_f32 v5, v6, v5
	global_load_u16 v1, v1, s[2:3]
	v_mul_f32_e32 v6, v7, v5
	v_fma_f32 v8, v4, v6, v7
	s_delay_alu instid0(VALU_DEP_1) | instskip(NEXT) | instid1(VALU_DEP_1)
	v_fmac_f32_e32 v6, v8, v5
	v_fmac_f32_e32 v7, v4, v6
	v_cvt_f32_i32_e32 v4, v2
	s_delay_alu instid0(VALU_DEP_2) | instskip(NEXT) | instid1(VALU_DEP_1)
	v_div_fmas_f32 v6, v7, v5, v6
	v_div_fixup_f32 v6, v6, s6, s7
	s_wait_loadcnt 0x0
	v_cvt_f32_f16_e32 v5, v1
	s_delay_alu instid0(VALU_DEP_1) | instskip(NEXT) | instid1(VALU_DEP_1)
	v_add_f32_e32 v4, v4, v5
	v_pk_mul_f32 v[4:5], v[6:7], v[4:5] op_sel_hi:[0,1]
	s_delay_alu instid0(VALU_DEP_1) | instskip(NEXT) | instid1(VALU_DEP_2)
	v_cvt_i32_f32_e32 v1, v5
	v_cvt_i32_f32_e32 v4, v4
	s_delay_alu instid0(VALU_DEP_1)
	v_sub_nc_u32_e32 v6, v4, v1
.LBB2_7:
	s_or_b32 exec_lo, exec_lo, s5
	s_load_b32 s6, s[0:1], 0xa8
	s_add_co_i32 s5, s4, -1
	s_mov_b32 s4, exec_lo
	s_wait_kmcnt 0x0
	s_sub_co_i32 s6, s6, s16
	s_delay_alu instid0(SALU_CYCLE_1)
	v_mov_b32_e32 v8, s6
	v_cmpx_ne_u32_e64 s5, v0
	s_cbranch_execz .LBB2_9
; %bb.8:
	s_load_b64 s[8:9], s[0:1], 0x108
	v_mov_b32_e32 v1, 0
	s_wait_kmcnt 0x0
	s_lshl_b64 s[8:9], s[8:9], 1
	s_delay_alu instid0(SALU_CYCLE_1) | instskip(SKIP_4) | instid1(SALU_CYCLE_3)
	s_add_nc_u64 s[2:3], s[2:3], s[8:9]
	global_load_u16 v1, v1, s[2:3]
	s_wait_xcnt 0x0
	s_cvt_f32_i32 s2, s6
	s_cvt_f32_i32 s3, s5
	v_div_scale_f32 v4, null, s3, s3, s2
	v_div_scale_f32 v8, vcc_lo, s2, s3, s2
	s_delay_alu instid0(VALU_DEP_2)
	v_rcp_f32_e32 v5, v4
	v_nop
	v_xor_b32_e32 v4, 0x80000000, v4
	s_delay_alu instid0(TRANS32_DEP_1) | instid1(VALU_DEP_1)
	v_fma_f32 v7, v4, v5, 1.0
	s_delay_alu instid0(VALU_DEP_1) | instskip(NEXT) | instid1(VALU_DEP_1)
	v_fmac_f32_e32 v5, v7, v5
	v_mul_f32_e32 v7, v8, v5
	s_delay_alu instid0(VALU_DEP_1) | instskip(NEXT) | instid1(VALU_DEP_1)
	v_fma_f32 v9, v4, v7, v8
	v_fmac_f32_e32 v7, v9, v5
	s_delay_alu instid0(VALU_DEP_1) | instskip(SKIP_1) | instid1(VALU_DEP_2)
	v_fmac_f32_e32 v8, v4, v7
	v_cvt_f32_i32_e32 v4, v0
	v_div_fmas_f32 v7, v8, v5, v7
	s_delay_alu instid0(VALU_DEP_1) | instskip(SKIP_2) | instid1(VALU_DEP_1)
	v_div_fixup_f32 v8, v7, s3, s2
	s_wait_loadcnt 0x0
	v_cvt_f32_f16_e32 v5, v1
	v_add_f32_e32 v4, v4, v5
	s_delay_alu instid0(VALU_DEP_1) | instskip(NEXT) | instid1(VALU_DEP_1)
	v_pk_mul_f32 v[4:5], v[8:9], v[4:5] op_sel_hi:[0,1]
	v_cvt_i32_f32_e32 v1, v5
	s_delay_alu instid0(VALU_DEP_2) | instskip(NEXT) | instid1(VALU_DEP_1)
	v_cvt_i32_f32_e32 v4, v4
	v_sub_nc_u32_e32 v8, v4, v1
.LBB2_9:
	s_or_b32 exec_lo, exec_lo, s4
	s_delay_alu instid0(VALU_DEP_1) | instskip(SKIP_1) | instid1(VALU_DEP_1)
	v_mul_lo_u32 v1, v8, s18
	s_cmp_lt_i32 s16, 1
	v_add_nc_u32_e32 v4, v1, v6
	s_cbranch_scc1 .LBB2_23
; %bb.10:
	s_load_b256 s[4:11], s[0:1], 0xb8
	v_dual_ashrrev_i32 v7, 31, v6 :: v_dual_ashrrev_i32 v9, 31, v8
	s_add_co_i32 s2, s17, -8
	v_add_nc_u32_e32 v5, s16, v8
	s_cmp_gt_u32 s2, -7
	s_load_b64 s[2:3], s[0:1], 0x90
	s_cselect_b32 s19, -1, 0
	s_cmp_gt_i32 s17, 0
	v_dual_mov_b32 v15, 0xfffffc00 :: v_dual_mov_b32 v16, v4
	s_cselect_b32 s20, -1, 0
	s_mov_b32 s16, 0
	s_wait_kmcnt 0x0
	v_mul_u64_e32 v[10:11], s[10:11], v[6:7]
	v_mul_u64_e32 v[12:13], s[8:9], v[8:9]
	s_mul_u64 s[6:7], s[6:7], s[14:15]
	s_mul_u64 s[4:5], s[4:5], s[12:13]
	s_lshl_b64 s[6:7], s[6:7], 1
	s_lshl_b64 s[4:5], s[4:5], 1
	v_add_nc_u32_e32 v7, s17, v6
	s_add_nc_u64 s[4:5], s[4:5], s[6:7]
	v_cndmask_b32_e64 v9, 0, 1, s20
	s_lshl_b64 s[6:7], s[10:11], 1
	s_delay_alu instid0(VALU_DEP_4) | instskip(SKIP_1) | instid1(VALU_DEP_1)
	v_lshl_add_u64 v[10:11], v[10:11], 1, s[4:5]
	s_lshl_b64 s[4:5], s[8:9], 1
	v_lshl_add_u64 v[10:11], v[12:13], 1, v[10:11]
	s_delay_alu instid0(VALU_DEP_1)
	v_add_nc_u64_e32 v[10:11], s[2:3], v[10:11]
	s_branch .LBB2_13
.LBB2_11:                               ;   in Loop: Header=BB2_13 Depth=1
	v_dual_mov_b32 v14, v15 :: v_dual_mov_b32 v17, v16
.LBB2_12:                               ;   in Loop: Header=BB2_13 Depth=1
	v_dual_add_nc_u32 v8, 1, v8 :: v_dual_add_nc_u32 v1, s18, v1
	v_add_nc_u64_e32 v[10:11], s[4:5], v[10:11]
	s_delay_alu instid0(VALU_DEP_3) | instskip(NEXT) | instid1(VALU_DEP_3)
	v_dual_add_nc_u32 v4, s18, v4 :: v_dual_mov_b32 v16, v17
	v_cmp_ge_i32_e32 vcc_lo, v8, v5
	v_mov_b32_e32 v15, v14
	s_or_b32 s16, vcc_lo, s16
	s_delay_alu instid0(SALU_CYCLE_1)
	s_and_not1_b32 exec_lo, exec_lo, s16
	s_cbranch_execz .LBB2_22
.LBB2_13:                               ; =>This Loop Header: Depth=1
                                        ;     Child Loop BB2_15 Depth 2
                                        ;     Child Loop BB2_20 Depth 2
	v_cmp_ne_u32_e64 s2, 1, v9
	s_and_not1_b32 vcc_lo, exec_lo, s19
	s_mov_b32 s3, -1
                                        ; implicit-def: $vgpr17
                                        ; implicit-def: $vgpr14
	s_cbranch_vccnz .LBB2_17
; %bb.14:                               ;   in Loop: Header=BB2_13 Depth=1
	v_mov_b64_e32 v[12:13], v[10:11]
	v_dual_mov_b32 v17, v16 :: v_dual_mov_b32 v14, v15
	v_mov_b32_e32 v18, v4
	s_and_b32 vcc_lo, exec_lo, s2
	s_mov_b32 s3, s17
	s_cbranch_vccnz .LBB2_16
.LBB2_15:                               ;   Parent Loop BB2_13 Depth=1
                                        ; =>  This Inner Loop Header: Depth=2
	global_load_u16 v19, v[12:13], off
	s_wait_xcnt 0x0
	v_add_nc_u64_e32 v[12:13], s[6:7], v[12:13]
	s_add_co_i32 s3, s3, -1
	s_wait_loadcnt 0x0
	v_cmp_gt_f16_e32 vcc_lo, v19, v14
	v_cmp_u_f16_e64 s2, v19, v19
	s_or_b32 vcc_lo, vcc_lo, s2
	s_cmp_lg_u32 s3, 0
	v_dual_cndmask_b32 v14, v14, v19 :: v_dual_cndmask_b32 v17, v17, v18
	v_add_nc_u32_e32 v18, 1, v18
	s_cbranch_scc1 .LBB2_15
.LBB2_16:                               ;   in Loop: Header=BB2_13 Depth=1
	s_mov_b32 s3, 0
.LBB2_17:                               ;   in Loop: Header=BB2_13 Depth=1
	s_delay_alu instid0(SALU_CYCLE_1)
	s_and_not1_b32 vcc_lo, exec_lo, s3
	s_cbranch_vccnz .LBB2_12
; %bb.18:                               ;   in Loop: Header=BB2_13 Depth=1
	s_and_not1_b32 vcc_lo, exec_lo, s20
	s_cbranch_vccnz .LBB2_11
; %bb.19:                               ;   in Loop: Header=BB2_13 Depth=1
	v_mov_b64_e32 v[12:13], v[10:11]
	v_mov_b32_e32 v14, v6
	s_mov_b32 s8, 0
.LBB2_20:                               ;   Parent Loop BB2_13 Depth=1
                                        ; =>  This Inner Loop Header: Depth=2
	global_load_u16 v17, v[12:13], off
	v_dual_add_nc_u32 v18, v1, v14 :: v_dual_add_nc_u32 v14, 1, v14
	s_wait_xcnt 0x0
	v_add_nc_u64_e32 v[12:13], s[6:7], v[12:13]
	s_delay_alu instid0(VALU_DEP_2)
	v_cmp_ge_i32_e64 s3, v14, v7
	s_wait_loadcnt 0x0
	v_cmp_gt_f16_e32 vcc_lo, v17, v15
	v_cmp_u_f16_e64 s2, v17, v17
	s_or_b32 vcc_lo, vcc_lo, s2
	s_or_b32 s8, s3, s8
	v_dual_cndmask_b32 v15, v15, v17 :: v_dual_cndmask_b32 v16, v16, v18
	s_and_not1_b32 exec_lo, exec_lo, s8
	s_cbranch_execnz .LBB2_20
; %bb.21:                               ;   in Loop: Header=BB2_13 Depth=1
	s_or_b32 exec_lo, exec_lo, s8
	s_branch .LBB2_11
.LBB2_22:
	s_or_b32 exec_lo, exec_lo, s16
	v_mov_b32_e32 v4, v17
	s_branch .LBB2_24
.LBB2_23:
	v_mov_b32_e32 v14, 0xfffffc00
.LBB2_24:
	s_clause 0x1
	s_load_b256 s[4:11], s[0:1], 0x70
	s_load_b256 s[16:23], s[0:1], 0x28
	v_ashrrev_i32_e32 v1, 31, v0
	v_ashrrev_i32_e32 v5, 31, v4
	s_wait_kmcnt 0x0
	s_delay_alu instid0(VALU_DEP_2)
	v_mul_u64_e32 v[6:7], s[8:9], v[0:1]
	v_mul_u64_e32 v[0:1], s[20:21], v[0:1]
	v_mul_u64_e32 v[8:9], s[10:11], v[2:3]
	v_mul_u64_e32 v[2:3], s[22:23], v[2:3]
	s_clause 0x1
	s_load_b64 s[2:3], s[0:1], 0x48
	s_load_b64 s[8:9], s[0:1], 0x0
	s_wait_xcnt 0x0
	s_mul_u64 s[0:1], s[4:5], s[12:13]
	s_mul_u64 s[4:5], s[6:7], s[14:15]
	s_mul_u64 s[6:7], s[16:17], s[12:13]
	s_lshl_b64 s[0:1], s[0:1], 3
	s_mul_u64 s[10:11], s[18:19], s[14:15]
	s_lshl_b64 s[6:7], s[6:7], 1
	s_lshl_b64 s[4:5], s[4:5], 3
	;; [unrolled: 1-line block ×3, first 2 shown]
	s_wait_kmcnt 0x0
	s_add_nc_u64 s[0:1], s[2:3], s[0:1]
	s_add_nc_u64 s[2:3], s[8:9], s[6:7]
	;; [unrolled: 1-line block ×4, first 2 shown]
	s_delay_alu instid0(VALU_DEP_4) | instskip(NEXT) | instid1(VALU_DEP_4)
	v_lshl_add_u64 v[6:7], v[6:7], 3, s[0:1]
	v_lshl_add_u64 v[0:1], v[0:1], 1, s[2:3]
	s_delay_alu instid0(VALU_DEP_2) | instskip(NEXT) | instid1(VALU_DEP_2)
	v_lshl_add_u64 v[6:7], v[8:9], 3, v[6:7]
	v_lshl_add_u64 v[0:1], v[2:3], 1, v[0:1]
	global_store_b64 v[6:7], v[4:5], off
	global_store_b16 v[0:1], v14, off
.LBB2_25:
	s_endpgm
	.section	.rodata,"a",@progbits
	.p2align	6, 0x0
	.amdhsa_kernel _ZN2at6native12_GLOBAL__N_136fractional_max_pool2d_out_cuda_frameIN3c104HalfEEEvN5torch10headeronly6detail27GenericPackedTensorAccessorINS7_14TensorAccessorINS3_8ArrayRefIlEET_Lm3ENS6_16DefaultPtrTraitsElEENS_6detail16IndexBoundsCheckILm4ElEESC_Lm4ESD_lEENS8_INS9_ISB_lLm3ESD_lEESH_lLm4ESD_lEENS8_INS9_ISB_KSC_Lm3ESD_lEESH_SL_Lm4ESD_lEENS8_INS9_ISB_SL_Lm2ESD_lEENSG_ILm3ElEESL_Lm3ESD_lEEii
		.amdhsa_group_segment_fixed_size 0
		.amdhsa_private_segment_fixed_size 0
		.amdhsa_kernarg_size 536
		.amdhsa_user_sgpr_count 2
		.amdhsa_user_sgpr_dispatch_ptr 0
		.amdhsa_user_sgpr_queue_ptr 0
		.amdhsa_user_sgpr_kernarg_segment_ptr 1
		.amdhsa_user_sgpr_dispatch_id 0
		.amdhsa_user_sgpr_kernarg_preload_length 0
		.amdhsa_user_sgpr_kernarg_preload_offset 0
		.amdhsa_user_sgpr_private_segment_size 0
		.amdhsa_wavefront_size32 1
		.amdhsa_uses_dynamic_stack 0
		.amdhsa_enable_private_segment 0
		.amdhsa_system_sgpr_workgroup_id_x 1
		.amdhsa_system_sgpr_workgroup_id_y 1
		.amdhsa_system_sgpr_workgroup_id_z 1
		.amdhsa_system_sgpr_workgroup_info 0
		.amdhsa_system_vgpr_workitem_id 0
		.amdhsa_next_free_vgpr 20
		.amdhsa_next_free_sgpr 24
		.amdhsa_named_barrier_count 0
		.amdhsa_reserve_vcc 1
		.amdhsa_float_round_mode_32 0
		.amdhsa_float_round_mode_16_64 0
		.amdhsa_float_denorm_mode_32 3
		.amdhsa_float_denorm_mode_16_64 3
		.amdhsa_fp16_overflow 0
		.amdhsa_memory_ordered 1
		.amdhsa_forward_progress 1
		.amdhsa_inst_pref_size 17
		.amdhsa_round_robin_scheduling 0
		.amdhsa_exception_fp_ieee_invalid_op 0
		.amdhsa_exception_fp_denorm_src 0
		.amdhsa_exception_fp_ieee_div_zero 0
		.amdhsa_exception_fp_ieee_overflow 0
		.amdhsa_exception_fp_ieee_underflow 0
		.amdhsa_exception_fp_ieee_inexact 0
		.amdhsa_exception_int_div_zero 0
	.end_amdhsa_kernel
	.section	.text._ZN2at6native12_GLOBAL__N_136fractional_max_pool2d_out_cuda_frameIN3c104HalfEEEvN5torch10headeronly6detail27GenericPackedTensorAccessorINS7_14TensorAccessorINS3_8ArrayRefIlEET_Lm3ENS6_16DefaultPtrTraitsElEENS_6detail16IndexBoundsCheckILm4ElEESC_Lm4ESD_lEENS8_INS9_ISB_lLm3ESD_lEESH_lLm4ESD_lEENS8_INS9_ISB_KSC_Lm3ESD_lEESH_SL_Lm4ESD_lEENS8_INS9_ISB_SL_Lm2ESD_lEENSG_ILm3ElEESL_Lm3ESD_lEEii,"axG",@progbits,_ZN2at6native12_GLOBAL__N_136fractional_max_pool2d_out_cuda_frameIN3c104HalfEEEvN5torch10headeronly6detail27GenericPackedTensorAccessorINS7_14TensorAccessorINS3_8ArrayRefIlEET_Lm3ENS6_16DefaultPtrTraitsElEENS_6detail16IndexBoundsCheckILm4ElEESC_Lm4ESD_lEENS8_INS9_ISB_lLm3ESD_lEESH_lLm4ESD_lEENS8_INS9_ISB_KSC_Lm3ESD_lEESH_SL_Lm4ESD_lEENS8_INS9_ISB_SL_Lm2ESD_lEENSG_ILm3ElEESL_Lm3ESD_lEEii,comdat
.Lfunc_end2:
	.size	_ZN2at6native12_GLOBAL__N_136fractional_max_pool2d_out_cuda_frameIN3c104HalfEEEvN5torch10headeronly6detail27GenericPackedTensorAccessorINS7_14TensorAccessorINS3_8ArrayRefIlEET_Lm3ENS6_16DefaultPtrTraitsElEENS_6detail16IndexBoundsCheckILm4ElEESC_Lm4ESD_lEENS8_INS9_ISB_lLm3ESD_lEESH_lLm4ESD_lEENS8_INS9_ISB_KSC_Lm3ESD_lEESH_SL_Lm4ESD_lEENS8_INS9_ISB_SL_Lm2ESD_lEENSG_ILm3ElEESL_Lm3ESD_lEEii, .Lfunc_end2-_ZN2at6native12_GLOBAL__N_136fractional_max_pool2d_out_cuda_frameIN3c104HalfEEEvN5torch10headeronly6detail27GenericPackedTensorAccessorINS7_14TensorAccessorINS3_8ArrayRefIlEET_Lm3ENS6_16DefaultPtrTraitsElEENS_6detail16IndexBoundsCheckILm4ElEESC_Lm4ESD_lEENS8_INS9_ISB_lLm3ESD_lEESH_lLm4ESD_lEENS8_INS9_ISB_KSC_Lm3ESD_lEESH_SL_Lm4ESD_lEENS8_INS9_ISB_SL_Lm2ESD_lEENSG_ILm3ElEESL_Lm3ESD_lEEii
                                        ; -- End function
	.set _ZN2at6native12_GLOBAL__N_136fractional_max_pool2d_out_cuda_frameIN3c104HalfEEEvN5torch10headeronly6detail27GenericPackedTensorAccessorINS7_14TensorAccessorINS3_8ArrayRefIlEET_Lm3ENS6_16DefaultPtrTraitsElEENS_6detail16IndexBoundsCheckILm4ElEESC_Lm4ESD_lEENS8_INS9_ISB_lLm3ESD_lEESH_lLm4ESD_lEENS8_INS9_ISB_KSC_Lm3ESD_lEESH_SL_Lm4ESD_lEENS8_INS9_ISB_SL_Lm2ESD_lEENSG_ILm3ElEESL_Lm3ESD_lEEii.num_vgpr, 20
	.set _ZN2at6native12_GLOBAL__N_136fractional_max_pool2d_out_cuda_frameIN3c104HalfEEEvN5torch10headeronly6detail27GenericPackedTensorAccessorINS7_14TensorAccessorINS3_8ArrayRefIlEET_Lm3ENS6_16DefaultPtrTraitsElEENS_6detail16IndexBoundsCheckILm4ElEESC_Lm4ESD_lEENS8_INS9_ISB_lLm3ESD_lEESH_lLm4ESD_lEENS8_INS9_ISB_KSC_Lm3ESD_lEESH_SL_Lm4ESD_lEENS8_INS9_ISB_SL_Lm2ESD_lEENSG_ILm3ElEESL_Lm3ESD_lEEii.num_agpr, 0
	.set _ZN2at6native12_GLOBAL__N_136fractional_max_pool2d_out_cuda_frameIN3c104HalfEEEvN5torch10headeronly6detail27GenericPackedTensorAccessorINS7_14TensorAccessorINS3_8ArrayRefIlEET_Lm3ENS6_16DefaultPtrTraitsElEENS_6detail16IndexBoundsCheckILm4ElEESC_Lm4ESD_lEENS8_INS9_ISB_lLm3ESD_lEESH_lLm4ESD_lEENS8_INS9_ISB_KSC_Lm3ESD_lEESH_SL_Lm4ESD_lEENS8_INS9_ISB_SL_Lm2ESD_lEENSG_ILm3ElEESL_Lm3ESD_lEEii.numbered_sgpr, 24
	.set _ZN2at6native12_GLOBAL__N_136fractional_max_pool2d_out_cuda_frameIN3c104HalfEEEvN5torch10headeronly6detail27GenericPackedTensorAccessorINS7_14TensorAccessorINS3_8ArrayRefIlEET_Lm3ENS6_16DefaultPtrTraitsElEENS_6detail16IndexBoundsCheckILm4ElEESC_Lm4ESD_lEENS8_INS9_ISB_lLm3ESD_lEESH_lLm4ESD_lEENS8_INS9_ISB_KSC_Lm3ESD_lEESH_SL_Lm4ESD_lEENS8_INS9_ISB_SL_Lm2ESD_lEENSG_ILm3ElEESL_Lm3ESD_lEEii.num_named_barrier, 0
	.set _ZN2at6native12_GLOBAL__N_136fractional_max_pool2d_out_cuda_frameIN3c104HalfEEEvN5torch10headeronly6detail27GenericPackedTensorAccessorINS7_14TensorAccessorINS3_8ArrayRefIlEET_Lm3ENS6_16DefaultPtrTraitsElEENS_6detail16IndexBoundsCheckILm4ElEESC_Lm4ESD_lEENS8_INS9_ISB_lLm3ESD_lEESH_lLm4ESD_lEENS8_INS9_ISB_KSC_Lm3ESD_lEESH_SL_Lm4ESD_lEENS8_INS9_ISB_SL_Lm2ESD_lEENSG_ILm3ElEESL_Lm3ESD_lEEii.private_seg_size, 0
	.set _ZN2at6native12_GLOBAL__N_136fractional_max_pool2d_out_cuda_frameIN3c104HalfEEEvN5torch10headeronly6detail27GenericPackedTensorAccessorINS7_14TensorAccessorINS3_8ArrayRefIlEET_Lm3ENS6_16DefaultPtrTraitsElEENS_6detail16IndexBoundsCheckILm4ElEESC_Lm4ESD_lEENS8_INS9_ISB_lLm3ESD_lEESH_lLm4ESD_lEENS8_INS9_ISB_KSC_Lm3ESD_lEESH_SL_Lm4ESD_lEENS8_INS9_ISB_SL_Lm2ESD_lEENSG_ILm3ElEESL_Lm3ESD_lEEii.uses_vcc, 1
	.set _ZN2at6native12_GLOBAL__N_136fractional_max_pool2d_out_cuda_frameIN3c104HalfEEEvN5torch10headeronly6detail27GenericPackedTensorAccessorINS7_14TensorAccessorINS3_8ArrayRefIlEET_Lm3ENS6_16DefaultPtrTraitsElEENS_6detail16IndexBoundsCheckILm4ElEESC_Lm4ESD_lEENS8_INS9_ISB_lLm3ESD_lEESH_lLm4ESD_lEENS8_INS9_ISB_KSC_Lm3ESD_lEESH_SL_Lm4ESD_lEENS8_INS9_ISB_SL_Lm2ESD_lEENSG_ILm3ElEESL_Lm3ESD_lEEii.uses_flat_scratch, 0
	.set _ZN2at6native12_GLOBAL__N_136fractional_max_pool2d_out_cuda_frameIN3c104HalfEEEvN5torch10headeronly6detail27GenericPackedTensorAccessorINS7_14TensorAccessorINS3_8ArrayRefIlEET_Lm3ENS6_16DefaultPtrTraitsElEENS_6detail16IndexBoundsCheckILm4ElEESC_Lm4ESD_lEENS8_INS9_ISB_lLm3ESD_lEESH_lLm4ESD_lEENS8_INS9_ISB_KSC_Lm3ESD_lEESH_SL_Lm4ESD_lEENS8_INS9_ISB_SL_Lm2ESD_lEENSG_ILm3ElEESL_Lm3ESD_lEEii.has_dyn_sized_stack, 0
	.set _ZN2at6native12_GLOBAL__N_136fractional_max_pool2d_out_cuda_frameIN3c104HalfEEEvN5torch10headeronly6detail27GenericPackedTensorAccessorINS7_14TensorAccessorINS3_8ArrayRefIlEET_Lm3ENS6_16DefaultPtrTraitsElEENS_6detail16IndexBoundsCheckILm4ElEESC_Lm4ESD_lEENS8_INS9_ISB_lLm3ESD_lEESH_lLm4ESD_lEENS8_INS9_ISB_KSC_Lm3ESD_lEESH_SL_Lm4ESD_lEENS8_INS9_ISB_SL_Lm2ESD_lEENSG_ILm3ElEESL_Lm3ESD_lEEii.has_recursion, 0
	.set _ZN2at6native12_GLOBAL__N_136fractional_max_pool2d_out_cuda_frameIN3c104HalfEEEvN5torch10headeronly6detail27GenericPackedTensorAccessorINS7_14TensorAccessorINS3_8ArrayRefIlEET_Lm3ENS6_16DefaultPtrTraitsElEENS_6detail16IndexBoundsCheckILm4ElEESC_Lm4ESD_lEENS8_INS9_ISB_lLm3ESD_lEESH_lLm4ESD_lEENS8_INS9_ISB_KSC_Lm3ESD_lEESH_SL_Lm4ESD_lEENS8_INS9_ISB_SL_Lm2ESD_lEENSG_ILm3ElEESL_Lm3ESD_lEEii.has_indirect_call, 0
	.section	.AMDGPU.csdata,"",@progbits
; Kernel info:
; codeLenInByte = 2176
; TotalNumSgprs: 26
; NumVgprs: 20
; ScratchSize: 0
; MemoryBound: 0
; FloatMode: 240
; IeeeMode: 1
; LDSByteSize: 0 bytes/workgroup (compile time only)
; SGPRBlocks: 0
; VGPRBlocks: 1
; NumSGPRsForWavesPerEU: 26
; NumVGPRsForWavesPerEU: 20
; NamedBarCnt: 0
; Occupancy: 16
; WaveLimiterHint : 1
; COMPUTE_PGM_RSRC2:SCRATCH_EN: 0
; COMPUTE_PGM_RSRC2:USER_SGPR: 2
; COMPUTE_PGM_RSRC2:TRAP_HANDLER: 0
; COMPUTE_PGM_RSRC2:TGID_X_EN: 1
; COMPUTE_PGM_RSRC2:TGID_Y_EN: 1
; COMPUTE_PGM_RSRC2:TGID_Z_EN: 1
; COMPUTE_PGM_RSRC2:TIDIG_COMP_CNT: 0
	.section	.text._ZN2at6native12_GLOBAL__N_136fractional_max_pool2d_out_cuda_frameIN3c108BFloat16EEEvN5torch10headeronly6detail27GenericPackedTensorAccessorINS7_14TensorAccessorINS3_8ArrayRefIlEET_Lm3ENS6_16DefaultPtrTraitsElEENS_6detail16IndexBoundsCheckILm4ElEESC_Lm4ESD_lEENS8_INS9_ISB_lLm3ESD_lEESH_lLm4ESD_lEENS8_INS9_ISB_KSC_Lm3ESD_lEESH_SL_Lm4ESD_lEENS8_INS9_ISB_SL_Lm2ESD_lEENSG_ILm3ElEESL_Lm3ESD_lEEii,"axG",@progbits,_ZN2at6native12_GLOBAL__N_136fractional_max_pool2d_out_cuda_frameIN3c108BFloat16EEEvN5torch10headeronly6detail27GenericPackedTensorAccessorINS7_14TensorAccessorINS3_8ArrayRefIlEET_Lm3ENS6_16DefaultPtrTraitsElEENS_6detail16IndexBoundsCheckILm4ElEESC_Lm4ESD_lEENS8_INS9_ISB_lLm3ESD_lEESH_lLm4ESD_lEENS8_INS9_ISB_KSC_Lm3ESD_lEESH_SL_Lm4ESD_lEENS8_INS9_ISB_SL_Lm2ESD_lEENSG_ILm3ElEESL_Lm3ESD_lEEii,comdat
	.globl	_ZN2at6native12_GLOBAL__N_136fractional_max_pool2d_out_cuda_frameIN3c108BFloat16EEEvN5torch10headeronly6detail27GenericPackedTensorAccessorINS7_14TensorAccessorINS3_8ArrayRefIlEET_Lm3ENS6_16DefaultPtrTraitsElEENS_6detail16IndexBoundsCheckILm4ElEESC_Lm4ESD_lEENS8_INS9_ISB_lLm3ESD_lEESH_lLm4ESD_lEENS8_INS9_ISB_KSC_Lm3ESD_lEESH_SL_Lm4ESD_lEENS8_INS9_ISB_SL_Lm2ESD_lEENSG_ILm3ElEESL_Lm3ESD_lEEii ; -- Begin function _ZN2at6native12_GLOBAL__N_136fractional_max_pool2d_out_cuda_frameIN3c108BFloat16EEEvN5torch10headeronly6detail27GenericPackedTensorAccessorINS7_14TensorAccessorINS3_8ArrayRefIlEET_Lm3ENS6_16DefaultPtrTraitsElEENS_6detail16IndexBoundsCheckILm4ElEESC_Lm4ESD_lEENS8_INS9_ISB_lLm3ESD_lEESH_lLm4ESD_lEENS8_INS9_ISB_KSC_Lm3ESD_lEESH_SL_Lm4ESD_lEENS8_INS9_ISB_SL_Lm2ESD_lEENSG_ILm3ElEESL_Lm3ESD_lEEii
	.p2align	8
	.type	_ZN2at6native12_GLOBAL__N_136fractional_max_pool2d_out_cuda_frameIN3c108BFloat16EEEvN5torch10headeronly6detail27GenericPackedTensorAccessorINS7_14TensorAccessorINS3_8ArrayRefIlEET_Lm3ENS6_16DefaultPtrTraitsElEENS_6detail16IndexBoundsCheckILm4ElEESC_Lm4ESD_lEENS8_INS9_ISB_lLm3ESD_lEESH_lLm4ESD_lEENS8_INS9_ISB_KSC_Lm3ESD_lEESH_SL_Lm4ESD_lEENS8_INS9_ISB_SL_Lm2ESD_lEENSG_ILm3ElEESL_Lm3ESD_lEEii,@function
_ZN2at6native12_GLOBAL__N_136fractional_max_pool2d_out_cuda_frameIN3c108BFloat16EEEvN5torch10headeronly6detail27GenericPackedTensorAccessorINS7_14TensorAccessorINS3_8ArrayRefIlEET_Lm3ENS6_16DefaultPtrTraitsElEENS_6detail16IndexBoundsCheckILm4ElEESC_Lm4ESD_lEENS8_INS9_ISB_lLm3ESD_lEESH_lLm4ESD_lEENS8_INS9_ISB_KSC_Lm3ESD_lEESH_SL_Lm4ESD_lEENS8_INS9_ISB_SL_Lm2ESD_lEENSG_ILm3ElEESL_Lm3ESD_lEEii: ; @_ZN2at6native12_GLOBAL__N_136fractional_max_pool2d_out_cuda_frameIN3c108BFloat16EEEvN5torch10headeronly6detail27GenericPackedTensorAccessorINS7_14TensorAccessorINS3_8ArrayRefIlEET_Lm3ENS6_16DefaultPtrTraitsElEENS_6detail16IndexBoundsCheckILm4ElEESC_Lm4ESD_lEENS8_INS9_ISB_lLm3ESD_lEESH_lLm4ESD_lEENS8_INS9_ISB_KSC_Lm3ESD_lEESH_SL_Lm4ESD_lEENS8_INS9_ISB_SL_Lm2ESD_lEENSG_ILm3ElEESL_Lm3ESD_lEEii
; %bb.0:
	s_load_b32 s2, s[0:1], 0x124
	s_bfe_u32 s4, ttmp6, 0x4000c
	s_and_b32 s8, ttmp6, 15
	s_add_co_i32 s9, s4, 1
	s_getreg_b32 s3, hwreg(HW_REG_IB_STS2, 6, 4)
	s_mul_i32 s9, ttmp9, s9
	s_load_b128 s[4:7], s[0:1], 0x18
	s_add_co_i32 s8, s8, s9
	s_wait_kmcnt 0x0
	s_and_b32 s2, s2, 0xffff
	s_cmp_eq_u32 s3, 0
	s_cselect_b32 s8, ttmp9, s8
	s_delay_alu instid0(SALU_CYCLE_1) | instskip(SKIP_2) | instid1(VALU_DEP_1)
	v_mad_u32 v2, s8, s2, v0
	s_mul_u64 s[8:9], s[6:7], s[4:5]
	s_mov_b32 s2, exec_lo
	v_ashrrev_i32_e32 v3, 31, v2
	s_delay_alu instid0(VALU_DEP_1)
	v_cmpx_gt_i64_e64 s[8:9], v[2:3]
	s_cbranch_execz .LBB3_25
; %bb.1:
	v_dual_mov_b32 v4, 0 :: v_dual_bitop2_b32 v5, s7, v3 bitop3:0x54
                                        ; implicit-def: $vgpr0_vgpr1
	s_mov_b32 s2, exec_lo
	s_delay_alu instid0(VALU_DEP_1)
	v_cmpx_ne_u64_e32 0, v[4:5]
	s_xor_b32 s5, exec_lo, s2
	s_cbranch_execz .LBB3_3
; %bb.2:
	s_ashr_i32 s8, s7, 31
	s_mov_b32 s19, 0
	s_mov_b32 s9, s8
	v_dual_mov_b32 v9, v4 :: v_dual_ashrrev_i32 v0, 31, v3
	s_add_nc_u64 s[10:11], s[6:7], s[8:9]
	v_dual_mov_b32 v17, v4 :: v_dual_mov_b32 v5, v4
	s_xor_b64 s[10:11], s[10:11], s[8:9]
	s_delay_alu instid0(VALU_DEP_2) | instskip(SKIP_3) | instid1(VALU_DEP_1)
	v_mov_b32_e32 v1, v0
	s_cvt_f32_u32 s2, s10
	s_cvt_f32_u32 s9, s11
	s_sub_nc_u64 s[14:15], 0, s[10:11]
	v_add_nc_u64_e32 v[6:7], v[2:3], v[0:1]
	s_delay_alu instid0(SALU_CYCLE_1) | instskip(SKIP_1) | instid1(SALU_CYCLE_2)
	s_fmamk_f32 s2, s9, 0x4f800000, s2
	v_mov_b32_e32 v11, v4
	v_s_rcp_f32 s2, s2
	s_delay_alu instid0(VALU_DEP_2) | instskip(NEXT) | instid1(VALU_DEP_3)
	v_xor_b32_e32 v8, v6, v0
	v_xor_b32_e32 v10, v7, v0
	;; [unrolled: 1-line block ×3, first 2 shown]
	s_delay_alu instid0(TRANS32_DEP_1) | instskip(NEXT) | instid1(SALU_CYCLE_3)
	s_mul_f32 s2, s2, 0x5f7ffffc
	s_mul_f32 s9, s2, 0x2f800000
	s_delay_alu instid0(SALU_CYCLE_3) | instskip(NEXT) | instid1(SALU_CYCLE_3)
	s_trunc_f32 s9, s9
	s_fmamk_f32 s2, s9, 0xcf800000, s2
	s_cvt_u32_f32 s13, s9
	s_delay_alu instid0(SALU_CYCLE_2) | instskip(NEXT) | instid1(SALU_CYCLE_3)
	s_cvt_u32_f32 s12, s2
	s_mul_u64 s[16:17], s[14:15], s[12:13]
	s_delay_alu instid0(SALU_CYCLE_1)
	s_mul_hi_u32 s21, s12, s17
	s_mul_i32 s20, s12, s17
	s_mul_hi_u32 s18, s12, s16
	s_mul_i32 s9, s13, s16
	s_add_nc_u64 s[20:21], s[18:19], s[20:21]
	s_mul_hi_u32 s2, s13, s16
	s_mul_hi_u32 s22, s13, s17
	s_add_co_u32 s9, s20, s9
	s_add_co_ci_u32 s18, s21, s2
	s_mul_i32 s16, s13, s17
	s_add_co_ci_u32 s17, s22, 0
	s_delay_alu instid0(SALU_CYCLE_1) | instskip(NEXT) | instid1(SALU_CYCLE_1)
	s_add_nc_u64 s[16:17], s[18:19], s[16:17]
	s_add_co_u32 s12, s12, s16
	s_cselect_b32 s2, -1, 0
	s_delay_alu instid0(SALU_CYCLE_1) | instskip(SKIP_1) | instid1(SALU_CYCLE_1)
	s_cmp_lg_u32 s2, 0
	s_add_co_ci_u32 s13, s13, s17
	s_mul_u64 s[14:15], s[14:15], s[12:13]
	s_delay_alu instid0(SALU_CYCLE_1)
	s_mul_hi_u32 s17, s12, s15
	s_mul_i32 s16, s12, s15
	s_mul_hi_u32 s18, s12, s14
	s_mul_i32 s9, s13, s14
	s_add_nc_u64 s[16:17], s[18:19], s[16:17]
	s_mul_hi_u32 s2, s13, s14
	s_mul_hi_u32 s20, s13, s15
	s_add_co_u32 s9, s16, s9
	s_add_co_ci_u32 s18, s17, s2
	s_mul_i32 s14, s13, s15
	s_add_co_ci_u32 s15, s20, 0
	s_delay_alu instid0(SALU_CYCLE_1) | instskip(NEXT) | instid1(SALU_CYCLE_1)
	s_add_nc_u64 s[14:15], s[18:19], s[14:15]
	s_add_co_u32 s2, s12, s14
	s_cselect_b32 s9, -1, 0
	v_mul_hi_u32 v16, v8, s2
	s_cmp_lg_u32 s9, 0
	s_add_co_ci_u32 s18, s13, s15
	s_mov_b64 s[12:13], 0xffffffff
	v_mul_u64_e32 v[12:13], s[18:19], v[8:9]
	s_and_b64 s[12:13], s[2:3], s[12:13]
	v_mul_u64_e32 v[14:15], s[18:19], v[10:11]
	v_mul_u64_e32 v[6:7], s[12:13], v[10:11]
	s_delay_alu instid0(VALU_DEP_3) | instskip(NEXT) | instid1(VALU_DEP_1)
	v_add_nc_u64_e32 v[12:13], v[16:17], v[12:13]
	v_add_co_u32 v1, vcc_lo, v12, v6
	s_delay_alu instid0(VALU_DEP_2) | instskip(SKIP_1) | instid1(VALU_DEP_1)
	v_add_co_ci_u32_e32 v4, vcc_lo, v13, v7, vcc_lo
	v_add_co_ci_u32_e32 v15, vcc_lo, 0, v15, vcc_lo
	v_add_nc_u64_e32 v[4:5], v[4:5], v[14:15]
	s_delay_alu instid0(VALU_DEP_1) | instskip(NEXT) | instid1(VALU_DEP_1)
	v_mul_u64_e32 v[6:7], s[10:11], v[4:5]
	v_sub_nc_u32_e32 v1, v10, v7
	s_delay_alu instid0(VALU_DEP_2) | instskip(NEXT) | instid1(VALU_DEP_1)
	v_sub_co_u32 v6, vcc_lo, v8, v6
	v_sub_co_ci_u32_e64 v10, null, v10, v7, vcc_lo
	s_delay_alu instid0(VALU_DEP_3) | instskip(NEXT) | instid1(VALU_DEP_3)
	v_subrev_co_ci_u32_e64 v1, null, s11, v1, vcc_lo
	v_sub_co_u32 v8, s2, v6, s10
	s_delay_alu instid0(VALU_DEP_1) | instskip(NEXT) | instid1(VALU_DEP_2)
	v_subrev_co_ci_u32_e64 v1, null, 0, v1, s2
	v_cmp_le_u32_e32 vcc_lo, s10, v8
	v_cndmask_b32_e64 v7, 0, -1, vcc_lo
	s_delay_alu instid0(VALU_DEP_3)
	v_cmp_le_u32_e32 vcc_lo, s11, v1
	v_cndmask_b32_e64 v8, 0, -1, vcc_lo
	v_cmp_le_u32_e32 vcc_lo, s10, v6
	v_cndmask_b32_e64 v11, 0, -1, vcc_lo
	v_cmp_le_u32_e32 vcc_lo, s11, v10
	v_cndmask_b32_e64 v12, 0, -1, vcc_lo
	v_cmp_eq_u32_e32 vcc_lo, s11, v1
	v_cndmask_b32_e32 v1, v8, v7, vcc_lo
	v_cmp_eq_u32_e32 vcc_lo, s11, v10
	v_add_nc_u64_e32 v[6:7], 2, v[4:5]
	v_add_nc_u64_e32 v[8:9], 1, v[4:5]
	v_cndmask_b32_e32 v10, v12, v11, vcc_lo
	v_cmp_ne_u32_e32 vcc_lo, 0, v1
	s_delay_alu instid0(VALU_DEP_2) | instskip(NEXT) | instid1(VALU_DEP_4)
	v_cmp_ne_u32_e64 s2, 0, v10
	v_dual_cndmask_b32 v6, v8, v6 :: v_dual_cndmask_b32 v1, v9, v7
	s_delay_alu instid0(VALU_DEP_1) | instskip(SKIP_1) | instid1(VALU_DEP_2)
	v_dual_cndmask_b32 v4, v4, v6, s2 :: v_dual_cndmask_b32 v5, v5, v1, s2
	v_mov_b32_e32 v1, v0
	v_xor_b32_e32 v4, v4, v0
	s_delay_alu instid0(VALU_DEP_3) | instskip(NEXT) | instid1(VALU_DEP_1)
	v_xor_b32_e32 v5, v5, v0
	v_sub_nc_u64_e32 v[0:1], v[4:5], v[0:1]
.LBB3_3:
	s_and_not1_saveexec_b32 s2, s5
	s_cbranch_execz .LBB3_5
; %bb.4:
	v_cvt_f32_u32_e32 v0, s6
	s_sub_co_i32 s5, 0, s6
	s_delay_alu instid0(VALU_DEP_1) | instskip(SKIP_1) | instid1(TRANS32_DEP_1)
	v_rcp_iflag_f32_e32 v0, v0
	v_nop
	v_mul_f32_e32 v0, 0x4f7ffffe, v0
	s_delay_alu instid0(VALU_DEP_1) | instskip(NEXT) | instid1(VALU_DEP_1)
	v_cvt_u32_f32_e32 v0, v0
	v_mul_lo_u32 v1, s5, v0
	s_delay_alu instid0(VALU_DEP_1) | instskip(NEXT) | instid1(VALU_DEP_1)
	v_mul_hi_u32 v1, v0, v1
	v_add_nc_u32_e32 v0, v0, v1
	s_delay_alu instid0(VALU_DEP_1) | instskip(NEXT) | instid1(VALU_DEP_1)
	v_mul_hi_u32 v0, v2, v0
	v_mul_lo_u32 v1, v0, s6
	s_delay_alu instid0(VALU_DEP_1) | instskip(NEXT) | instid1(VALU_DEP_1)
	v_sub_nc_u32_e32 v1, v2, v1
	v_subrev_nc_u32_e32 v5, s6, v1
	v_cmp_le_u32_e32 vcc_lo, s6, v1
	s_delay_alu instid0(VALU_DEP_2) | instskip(NEXT) | instid1(VALU_DEP_1)
	v_dual_cndmask_b32 v1, v1, v5 :: v_dual_add_nc_u32 v4, 1, v0
	v_cndmask_b32_e32 v0, v0, v4, vcc_lo
	s_delay_alu instid0(VALU_DEP_2) | instskip(NEXT) | instid1(VALU_DEP_2)
	v_cmp_le_u32_e32 vcc_lo, s6, v1
	v_dual_mov_b32 v1, 0 :: v_dual_add_nc_u32 v4, 1, v0
	s_delay_alu instid0(VALU_DEP_1)
	v_cndmask_b32_e32 v0, v0, v4, vcc_lo
.LBB3_5:
	s_or_b32 exec_lo, exec_lo, s2
	s_delay_alu instid0(VALU_DEP_1)
	v_mul_u64_e32 v[4:5], s[6:7], v[0:1]
	s_clause 0x3
	s_load_b64 s[16:17], s[0:1], 0x110
	s_load_b128 s[8:11], s[0:1], 0xf8
	s_load_b32 s18, s[0:1], 0xb0
	s_load_b64 s[20:21], s[0:1], 0xd8
	s_bfe_u32 s5, ttmp6, 0x40010
	s_bfe_u32 s14, ttmp6, 0x40014
	s_and_b32 s2, ttmp7, 0xffff
	s_lshr_b32 s12, ttmp7, 16
	s_add_co_i32 s5, s5, 1
	s_add_co_i32 s14, s14, 1
	s_bfe_u32 s7, ttmp6, 0x40004
	s_bfe_u32 s15, ttmp6, 0x40008
	s_mul_i32 s5, s2, s5
	s_mul_i32 s14, s12, s14
	s_add_co_i32 s7, s7, s5
	s_add_co_i32 s5, s15, s14
	s_cmp_eq_u32 s3, 0
	s_mov_b32 s13, 0
	s_cselect_b32 s12, s12, s5
	s_mov_b32 s15, s13
	s_cselect_b32 s14, s2, s7
	s_add_co_i32 s6, s6, -1
	s_wait_kmcnt 0x0
	s_mul_u64 s[2:3], s[8:9], s[12:13]
	s_sub_co_i32 s7, s18, s17
	s_mul_u64 s[8:9], s[10:11], s[14:15]
	s_lshl_b64 s[2:3], s[2:3], 1
	v_mov_b32_e32 v6, s7
	s_add_nc_u64 s[2:3], s[20:21], s[2:3]
	s_lshl_b64 s[8:9], s[8:9], 1
	s_mov_b32 s5, exec_lo
	s_add_nc_u64 s[2:3], s[2:3], s[8:9]
	v_sub_nc_u64_e32 v[2:3], v[2:3], v[4:5]
	s_delay_alu instid0(VALU_DEP_1)
	v_cmpx_ne_u32_e64 s6, v2
	s_cbranch_execz .LBB3_7
; %bb.6:
	s_cvt_f32_i32 s7, s7
	s_cvt_f32_i32 s6, s6
	s_load_u16 s8, s[2:3], 0x0
	s_delay_alu instid0(SALU_CYCLE_2) | instskip(SKIP_1) | instid1(VALU_DEP_2)
	v_div_scale_f32 v1, null, s6, s6, s7
	v_div_scale_f32 v6, vcc_lo, s7, s6, s7
	v_rcp_f32_e32 v4, v1
	v_nop
	v_xor_b32_e32 v1, 0x80000000, v1
	s_delay_alu instid0(TRANS32_DEP_1) | instid1(VALU_DEP_1)
	v_fma_f32 v5, v1, v4, 1.0
	s_wait_kmcnt 0x0
	s_lshl_b32 s8, s8, 16
	s_delay_alu instid0(VALU_DEP_1) | instskip(NEXT) | instid1(VALU_DEP_1)
	v_fmac_f32_e32 v4, v5, v4
	v_mul_f32_e32 v5, v6, v4
	s_delay_alu instid0(VALU_DEP_1) | instskip(NEXT) | instid1(VALU_DEP_1)
	v_fma_f32 v7, v1, v5, v6
	v_fmac_f32_e32 v5, v7, v4
	s_delay_alu instid0(VALU_DEP_1) | instskip(SKIP_1) | instid1(VALU_DEP_2)
	v_fmac_f32_e32 v6, v1, v5
	v_cvt_f32_i32_e32 v1, v2
	v_div_fmas_f32 v6, v6, v4, v5
	s_delay_alu instid0(VALU_DEP_2) | instskip(NEXT) | instid1(VALU_DEP_2)
	v_dual_add_f32 v4, s8, v1 :: v_dual_mov_b32 v5, s8
	v_div_fixup_f32 v6, v6, s6, s7
	s_delay_alu instid0(VALU_DEP_1) | instskip(NEXT) | instid1(VALU_DEP_1)
	v_pk_mul_f32 v[4:5], v[6:7], v[4:5] op_sel_hi:[0,1]
	v_cvt_i32_f32_e32 v1, v5
	s_delay_alu instid0(VALU_DEP_2) | instskip(NEXT) | instid1(VALU_DEP_1)
	v_cvt_i32_f32_e32 v4, v4
	v_sub_nc_u32_e32 v6, v4, v1
.LBB3_7:
	s_or_b32 exec_lo, exec_lo, s5
	s_load_b32 s6, s[0:1], 0xa8
	s_add_co_i32 s5, s4, -1
	s_mov_b32 s4, exec_lo
	s_wait_kmcnt 0x0
	s_sub_co_i32 s6, s6, s16
	s_delay_alu instid0(SALU_CYCLE_1)
	v_mov_b32_e32 v8, s6
	v_cmpx_ne_u32_e64 s5, v0
	s_cbranch_execz .LBB3_9
; %bb.8:
	s_cvt_f32_i32 s8, s6
	s_load_b64 s[6:7], s[0:1], 0x108
	s_cvt_f32_i32 s5, s5
	s_delay_alu instid0(SALU_CYCLE_3) | instskip(SKIP_1) | instid1(VALU_DEP_2)
	v_div_scale_f32 v1, null, s5, s5, s8
	v_div_scale_f32 v7, vcc_lo, s8, s5, s8
	v_rcp_f32_e32 v4, v1
	v_nop
	v_xor_b32_e32 v1, 0x80000000, v1
	s_delay_alu instid0(TRANS32_DEP_1) | instid1(VALU_DEP_1)
	v_fma_f32 v5, v1, v4, 1.0
	s_wait_kmcnt 0x0
	s_lshl_b64 s[6:7], s[6:7], 1
	s_delay_alu instid0(SALU_CYCLE_1) | instskip(SKIP_4) | instid1(VALU_DEP_1)
	s_add_nc_u64 s[2:3], s[2:3], s[6:7]
	s_load_u16 s2, s[2:3], 0x0
	s_wait_kmcnt 0x0
	s_lshl_b32 s2, s2, 16
	v_fmac_f32_e32 v4, v5, v4
	v_mul_f32_e32 v5, v7, v4
	s_delay_alu instid0(VALU_DEP_1) | instskip(NEXT) | instid1(VALU_DEP_1)
	v_fma_f32 v8, v1, v5, v7
	v_fmac_f32_e32 v5, v8, v4
	s_delay_alu instid0(VALU_DEP_1) | instskip(SKIP_1) | instid1(VALU_DEP_2)
	v_fmac_f32_e32 v7, v1, v5
	v_cvt_f32_i32_e32 v1, v0
	v_div_fmas_f32 v7, v7, v4, v5
	s_delay_alu instid0(VALU_DEP_2) | instskip(NEXT) | instid1(VALU_DEP_2)
	v_dual_add_f32 v4, s2, v1 :: v_dual_mov_b32 v5, s2
	v_div_fixup_f32 v8, v7, s5, s8
	s_delay_alu instid0(VALU_DEP_1) | instskip(NEXT) | instid1(VALU_DEP_1)
	v_pk_mul_f32 v[4:5], v[8:9], v[4:5] op_sel_hi:[0,1]
	v_cvt_i32_f32_e32 v1, v5
	s_delay_alu instid0(VALU_DEP_2) | instskip(NEXT) | instid1(VALU_DEP_1)
	v_cvt_i32_f32_e32 v4, v4
	v_sub_nc_u32_e32 v8, v4, v1
.LBB3_9:
	s_or_b32 exec_lo, exec_lo, s4
	s_delay_alu instid0(VALU_DEP_1) | instskip(SKIP_1) | instid1(VALU_DEP_1)
	v_mul_lo_u32 v1, v8, s18
	s_cmp_lt_i32 s16, 1
	v_add_nc_u32_e32 v4, v1, v6
	s_cbranch_scc1 .LBB3_23
; %bb.10:
	s_load_b256 s[4:11], s[0:1], 0xb8
	v_dual_ashrrev_i32 v7, 31, v6 :: v_dual_ashrrev_i32 v9, 31, v8
	s_add_co_i32 s2, s17, -8
	v_add_nc_u32_e32 v5, s16, v8
	s_cmp_gt_u32 s2, -7
	s_load_b64 s[2:3], s[0:1], 0x90
	s_cselect_b32 s19, -1, 0
	s_cmp_gt_i32 s17, 0
	v_dual_mov_b32 v15, 0xffffff80 :: v_dual_mov_b32 v16, v4
	s_cselect_b32 s20, -1, 0
	s_mov_b32 s16, 0
	s_wait_kmcnt 0x0
	v_mul_u64_e32 v[10:11], s[10:11], v[6:7]
	v_mul_u64_e32 v[12:13], s[8:9], v[8:9]
	s_mul_u64 s[6:7], s[6:7], s[14:15]
	s_mul_u64 s[4:5], s[4:5], s[12:13]
	s_lshl_b64 s[6:7], s[6:7], 1
	s_lshl_b64 s[4:5], s[4:5], 1
	v_add_nc_u32_e32 v7, s17, v6
	s_add_nc_u64 s[4:5], s[4:5], s[6:7]
	v_cndmask_b32_e64 v9, 0, 1, s20
	s_lshl_b64 s[6:7], s[10:11], 1
	s_delay_alu instid0(VALU_DEP_4) | instskip(SKIP_1) | instid1(VALU_DEP_1)
	v_lshl_add_u64 v[10:11], v[10:11], 1, s[4:5]
	s_lshl_b64 s[4:5], s[8:9], 1
	v_lshl_add_u64 v[10:11], v[12:13], 1, v[10:11]
	s_delay_alu instid0(VALU_DEP_1)
	v_add_nc_u64_e32 v[10:11], s[2:3], v[10:11]
	s_branch .LBB3_13
.LBB3_11:                               ;   in Loop: Header=BB3_13 Depth=1
	v_dual_mov_b32 v14, v15 :: v_dual_mov_b32 v17, v16
.LBB3_12:                               ;   in Loop: Header=BB3_13 Depth=1
	v_dual_add_nc_u32 v8, 1, v8 :: v_dual_add_nc_u32 v1, s18, v1
	v_add_nc_u64_e32 v[10:11], s[4:5], v[10:11]
	s_delay_alu instid0(VALU_DEP_3) | instskip(NEXT) | instid1(VALU_DEP_3)
	v_dual_add_nc_u32 v4, s18, v4 :: v_dual_mov_b32 v16, v17
	v_cmp_ge_i32_e32 vcc_lo, v8, v5
	v_mov_b32_e32 v15, v14
	s_or_b32 s16, vcc_lo, s16
	s_delay_alu instid0(SALU_CYCLE_1)
	s_and_not1_b32 exec_lo, exec_lo, s16
	s_cbranch_execz .LBB3_22
.LBB3_13:                               ; =>This Loop Header: Depth=1
                                        ;     Child Loop BB3_15 Depth 2
                                        ;     Child Loop BB3_20 Depth 2
	v_cmp_ne_u32_e64 s2, 1, v9
	s_and_not1_b32 vcc_lo, exec_lo, s19
	s_mov_b32 s3, -1
                                        ; implicit-def: $vgpr17
                                        ; implicit-def: $vgpr14
	s_cbranch_vccnz .LBB3_17
; %bb.14:                               ;   in Loop: Header=BB3_13 Depth=1
	v_mov_b64_e32 v[12:13], v[10:11]
	v_dual_mov_b32 v17, v16 :: v_dual_mov_b32 v14, v15
	v_mov_b32_e32 v18, v4
	s_and_b32 vcc_lo, exec_lo, s2
	s_mov_b32 s3, s17
	s_cbranch_vccnz .LBB3_16
.LBB3_15:                               ;   Parent Loop BB3_13 Depth=1
                                        ; =>  This Inner Loop Header: Depth=2
	global_load_u16 v19, v[12:13], off
	v_lshlrev_b32_e32 v20, 16, v14
	s_wait_xcnt 0x0
	v_add_nc_u64_e32 v[12:13], s[6:7], v[12:13]
	s_add_co_i32 s3, s3, -1
	s_wait_loadcnt 0x0
	v_lshlrev_b32_e32 v21, 16, v19
	s_delay_alu instid0(VALU_DEP_1)
	v_cmp_gt_f32_e32 vcc_lo, v21, v20
	v_cmp_u_f32_e64 s2, v21, v21
	s_or_b32 vcc_lo, vcc_lo, s2
	s_cmp_lg_u32 s3, 0
	v_dual_cndmask_b32 v14, v14, v19 :: v_dual_cndmask_b32 v17, v17, v18
	v_add_nc_u32_e32 v18, 1, v18
	s_cbranch_scc1 .LBB3_15
.LBB3_16:                               ;   in Loop: Header=BB3_13 Depth=1
	s_mov_b32 s3, 0
.LBB3_17:                               ;   in Loop: Header=BB3_13 Depth=1
	s_delay_alu instid0(SALU_CYCLE_1)
	s_and_not1_b32 vcc_lo, exec_lo, s3
	s_cbranch_vccnz .LBB3_12
; %bb.18:                               ;   in Loop: Header=BB3_13 Depth=1
	s_and_not1_b32 vcc_lo, exec_lo, s20
	s_cbranch_vccnz .LBB3_11
; %bb.19:                               ;   in Loop: Header=BB3_13 Depth=1
	v_mov_b64_e32 v[12:13], v[10:11]
	v_mov_b32_e32 v14, v6
	s_mov_b32 s8, 0
.LBB3_20:                               ;   Parent Loop BB3_13 Depth=1
                                        ; =>  This Inner Loop Header: Depth=2
	global_load_u16 v17, v[12:13], off
	v_dual_lshlrev_b32 v18, 16, v15 :: v_dual_add_nc_u32 v20, v1, v14
	v_add_nc_u32_e32 v14, 1, v14
	s_wait_xcnt 0x0
	v_add_nc_u64_e32 v[12:13], s[6:7], v[12:13]
	s_delay_alu instid0(VALU_DEP_2) | instskip(SKIP_2) | instid1(VALU_DEP_1)
	v_cmp_ge_i32_e64 s3, v14, v7
	s_wait_loadcnt 0x0
	v_lshlrev_b32_e32 v19, 16, v17
	v_cmp_gt_f32_e32 vcc_lo, v19, v18
	v_cmp_u_f32_e64 s2, v19, v19
	s_or_b32 vcc_lo, vcc_lo, s2
	s_or_b32 s8, s3, s8
	v_dual_cndmask_b32 v15, v15, v17 :: v_dual_cndmask_b32 v16, v16, v20
	s_and_not1_b32 exec_lo, exec_lo, s8
	s_cbranch_execnz .LBB3_20
; %bb.21:                               ;   in Loop: Header=BB3_13 Depth=1
	s_or_b32 exec_lo, exec_lo, s8
	s_branch .LBB3_11
.LBB3_22:
	s_or_b32 exec_lo, exec_lo, s16
	v_mov_b32_e32 v4, v17
	s_branch .LBB3_24
.LBB3_23:
	v_mov_b32_e32 v14, 0xffffff80
.LBB3_24:
	s_clause 0x1
	s_load_b256 s[4:11], s[0:1], 0x70
	s_load_b256 s[16:23], s[0:1], 0x28
	v_ashrrev_i32_e32 v1, 31, v0
	v_ashrrev_i32_e32 v5, 31, v4
	s_wait_kmcnt 0x0
	s_delay_alu instid0(VALU_DEP_2)
	v_mul_u64_e32 v[6:7], s[8:9], v[0:1]
	v_mul_u64_e32 v[0:1], s[20:21], v[0:1]
	;; [unrolled: 1-line block ×4, first 2 shown]
	s_clause 0x1
	s_load_b64 s[2:3], s[0:1], 0x48
	s_load_b64 s[8:9], s[0:1], 0x0
	s_wait_xcnt 0x0
	s_mul_u64 s[0:1], s[4:5], s[12:13]
	s_mul_u64 s[4:5], s[6:7], s[14:15]
	;; [unrolled: 1-line block ×3, first 2 shown]
	s_lshl_b64 s[0:1], s[0:1], 3
	s_mul_u64 s[10:11], s[18:19], s[14:15]
	s_lshl_b64 s[6:7], s[6:7], 1
	s_lshl_b64 s[4:5], s[4:5], 3
	;; [unrolled: 1-line block ×3, first 2 shown]
	s_wait_kmcnt 0x0
	s_add_nc_u64 s[0:1], s[2:3], s[0:1]
	s_add_nc_u64 s[2:3], s[8:9], s[6:7]
	;; [unrolled: 1-line block ×4, first 2 shown]
	s_delay_alu instid0(VALU_DEP_4) | instskip(NEXT) | instid1(VALU_DEP_4)
	v_lshl_add_u64 v[6:7], v[6:7], 3, s[0:1]
	v_lshl_add_u64 v[0:1], v[0:1], 1, s[2:3]
	s_delay_alu instid0(VALU_DEP_2) | instskip(NEXT) | instid1(VALU_DEP_2)
	v_lshl_add_u64 v[6:7], v[8:9], 3, v[6:7]
	v_lshl_add_u64 v[0:1], v[2:3], 1, v[0:1]
	global_store_b64 v[6:7], v[4:5], off
	global_store_b16 v[0:1], v14, off
.LBB3_25:
	s_endpgm
	.section	.rodata,"a",@progbits
	.p2align	6, 0x0
	.amdhsa_kernel _ZN2at6native12_GLOBAL__N_136fractional_max_pool2d_out_cuda_frameIN3c108BFloat16EEEvN5torch10headeronly6detail27GenericPackedTensorAccessorINS7_14TensorAccessorINS3_8ArrayRefIlEET_Lm3ENS6_16DefaultPtrTraitsElEENS_6detail16IndexBoundsCheckILm4ElEESC_Lm4ESD_lEENS8_INS9_ISB_lLm3ESD_lEESH_lLm4ESD_lEENS8_INS9_ISB_KSC_Lm3ESD_lEESH_SL_Lm4ESD_lEENS8_INS9_ISB_SL_Lm2ESD_lEENSG_ILm3ElEESL_Lm3ESD_lEEii
		.amdhsa_group_segment_fixed_size 0
		.amdhsa_private_segment_fixed_size 0
		.amdhsa_kernarg_size 536
		.amdhsa_user_sgpr_count 2
		.amdhsa_user_sgpr_dispatch_ptr 0
		.amdhsa_user_sgpr_queue_ptr 0
		.amdhsa_user_sgpr_kernarg_segment_ptr 1
		.amdhsa_user_sgpr_dispatch_id 0
		.amdhsa_user_sgpr_kernarg_preload_length 0
		.amdhsa_user_sgpr_kernarg_preload_offset 0
		.amdhsa_user_sgpr_private_segment_size 0
		.amdhsa_wavefront_size32 1
		.amdhsa_uses_dynamic_stack 0
		.amdhsa_enable_private_segment 0
		.amdhsa_system_sgpr_workgroup_id_x 1
		.amdhsa_system_sgpr_workgroup_id_y 1
		.amdhsa_system_sgpr_workgroup_id_z 1
		.amdhsa_system_sgpr_workgroup_info 0
		.amdhsa_system_vgpr_workitem_id 0
		.amdhsa_next_free_vgpr 22
		.amdhsa_next_free_sgpr 24
		.amdhsa_named_barrier_count 0
		.amdhsa_reserve_vcc 1
		.amdhsa_float_round_mode_32 0
		.amdhsa_float_round_mode_16_64 0
		.amdhsa_float_denorm_mode_32 3
		.amdhsa_float_denorm_mode_16_64 3
		.amdhsa_fp16_overflow 0
		.amdhsa_memory_ordered 1
		.amdhsa_forward_progress 1
		.amdhsa_inst_pref_size 17
		.amdhsa_round_robin_scheduling 0
		.amdhsa_exception_fp_ieee_invalid_op 0
		.amdhsa_exception_fp_denorm_src 0
		.amdhsa_exception_fp_ieee_div_zero 0
		.amdhsa_exception_fp_ieee_overflow 0
		.amdhsa_exception_fp_ieee_underflow 0
		.amdhsa_exception_fp_ieee_inexact 0
		.amdhsa_exception_int_div_zero 0
	.end_amdhsa_kernel
	.section	.text._ZN2at6native12_GLOBAL__N_136fractional_max_pool2d_out_cuda_frameIN3c108BFloat16EEEvN5torch10headeronly6detail27GenericPackedTensorAccessorINS7_14TensorAccessorINS3_8ArrayRefIlEET_Lm3ENS6_16DefaultPtrTraitsElEENS_6detail16IndexBoundsCheckILm4ElEESC_Lm4ESD_lEENS8_INS9_ISB_lLm3ESD_lEESH_lLm4ESD_lEENS8_INS9_ISB_KSC_Lm3ESD_lEESH_SL_Lm4ESD_lEENS8_INS9_ISB_SL_Lm2ESD_lEENSG_ILm3ElEESL_Lm3ESD_lEEii,"axG",@progbits,_ZN2at6native12_GLOBAL__N_136fractional_max_pool2d_out_cuda_frameIN3c108BFloat16EEEvN5torch10headeronly6detail27GenericPackedTensorAccessorINS7_14TensorAccessorINS3_8ArrayRefIlEET_Lm3ENS6_16DefaultPtrTraitsElEENS_6detail16IndexBoundsCheckILm4ElEESC_Lm4ESD_lEENS8_INS9_ISB_lLm3ESD_lEESH_lLm4ESD_lEENS8_INS9_ISB_KSC_Lm3ESD_lEESH_SL_Lm4ESD_lEENS8_INS9_ISB_SL_Lm2ESD_lEENSG_ILm3ElEESL_Lm3ESD_lEEii,comdat
.Lfunc_end3:
	.size	_ZN2at6native12_GLOBAL__N_136fractional_max_pool2d_out_cuda_frameIN3c108BFloat16EEEvN5torch10headeronly6detail27GenericPackedTensorAccessorINS7_14TensorAccessorINS3_8ArrayRefIlEET_Lm3ENS6_16DefaultPtrTraitsElEENS_6detail16IndexBoundsCheckILm4ElEESC_Lm4ESD_lEENS8_INS9_ISB_lLm3ESD_lEESH_lLm4ESD_lEENS8_INS9_ISB_KSC_Lm3ESD_lEESH_SL_Lm4ESD_lEENS8_INS9_ISB_SL_Lm2ESD_lEENSG_ILm3ElEESL_Lm3ESD_lEEii, .Lfunc_end3-_ZN2at6native12_GLOBAL__N_136fractional_max_pool2d_out_cuda_frameIN3c108BFloat16EEEvN5torch10headeronly6detail27GenericPackedTensorAccessorINS7_14TensorAccessorINS3_8ArrayRefIlEET_Lm3ENS6_16DefaultPtrTraitsElEENS_6detail16IndexBoundsCheckILm4ElEESC_Lm4ESD_lEENS8_INS9_ISB_lLm3ESD_lEESH_lLm4ESD_lEENS8_INS9_ISB_KSC_Lm3ESD_lEESH_SL_Lm4ESD_lEENS8_INS9_ISB_SL_Lm2ESD_lEENSG_ILm3ElEESL_Lm3ESD_lEEii
                                        ; -- End function
	.set _ZN2at6native12_GLOBAL__N_136fractional_max_pool2d_out_cuda_frameIN3c108BFloat16EEEvN5torch10headeronly6detail27GenericPackedTensorAccessorINS7_14TensorAccessorINS3_8ArrayRefIlEET_Lm3ENS6_16DefaultPtrTraitsElEENS_6detail16IndexBoundsCheckILm4ElEESC_Lm4ESD_lEENS8_INS9_ISB_lLm3ESD_lEESH_lLm4ESD_lEENS8_INS9_ISB_KSC_Lm3ESD_lEESH_SL_Lm4ESD_lEENS8_INS9_ISB_SL_Lm2ESD_lEENSG_ILm3ElEESL_Lm3ESD_lEEii.num_vgpr, 22
	.set _ZN2at6native12_GLOBAL__N_136fractional_max_pool2d_out_cuda_frameIN3c108BFloat16EEEvN5torch10headeronly6detail27GenericPackedTensorAccessorINS7_14TensorAccessorINS3_8ArrayRefIlEET_Lm3ENS6_16DefaultPtrTraitsElEENS_6detail16IndexBoundsCheckILm4ElEESC_Lm4ESD_lEENS8_INS9_ISB_lLm3ESD_lEESH_lLm4ESD_lEENS8_INS9_ISB_KSC_Lm3ESD_lEESH_SL_Lm4ESD_lEENS8_INS9_ISB_SL_Lm2ESD_lEENSG_ILm3ElEESL_Lm3ESD_lEEii.num_agpr, 0
	.set _ZN2at6native12_GLOBAL__N_136fractional_max_pool2d_out_cuda_frameIN3c108BFloat16EEEvN5torch10headeronly6detail27GenericPackedTensorAccessorINS7_14TensorAccessorINS3_8ArrayRefIlEET_Lm3ENS6_16DefaultPtrTraitsElEENS_6detail16IndexBoundsCheckILm4ElEESC_Lm4ESD_lEENS8_INS9_ISB_lLm3ESD_lEESH_lLm4ESD_lEENS8_INS9_ISB_KSC_Lm3ESD_lEESH_SL_Lm4ESD_lEENS8_INS9_ISB_SL_Lm2ESD_lEENSG_ILm3ElEESL_Lm3ESD_lEEii.numbered_sgpr, 24
	.set _ZN2at6native12_GLOBAL__N_136fractional_max_pool2d_out_cuda_frameIN3c108BFloat16EEEvN5torch10headeronly6detail27GenericPackedTensorAccessorINS7_14TensorAccessorINS3_8ArrayRefIlEET_Lm3ENS6_16DefaultPtrTraitsElEENS_6detail16IndexBoundsCheckILm4ElEESC_Lm4ESD_lEENS8_INS9_ISB_lLm3ESD_lEESH_lLm4ESD_lEENS8_INS9_ISB_KSC_Lm3ESD_lEESH_SL_Lm4ESD_lEENS8_INS9_ISB_SL_Lm2ESD_lEENSG_ILm3ElEESL_Lm3ESD_lEEii.num_named_barrier, 0
	.set _ZN2at6native12_GLOBAL__N_136fractional_max_pool2d_out_cuda_frameIN3c108BFloat16EEEvN5torch10headeronly6detail27GenericPackedTensorAccessorINS7_14TensorAccessorINS3_8ArrayRefIlEET_Lm3ENS6_16DefaultPtrTraitsElEENS_6detail16IndexBoundsCheckILm4ElEESC_Lm4ESD_lEENS8_INS9_ISB_lLm3ESD_lEESH_lLm4ESD_lEENS8_INS9_ISB_KSC_Lm3ESD_lEESH_SL_Lm4ESD_lEENS8_INS9_ISB_SL_Lm2ESD_lEENSG_ILm3ElEESL_Lm3ESD_lEEii.private_seg_size, 0
	.set _ZN2at6native12_GLOBAL__N_136fractional_max_pool2d_out_cuda_frameIN3c108BFloat16EEEvN5torch10headeronly6detail27GenericPackedTensorAccessorINS7_14TensorAccessorINS3_8ArrayRefIlEET_Lm3ENS6_16DefaultPtrTraitsElEENS_6detail16IndexBoundsCheckILm4ElEESC_Lm4ESD_lEENS8_INS9_ISB_lLm3ESD_lEESH_lLm4ESD_lEENS8_INS9_ISB_KSC_Lm3ESD_lEESH_SL_Lm4ESD_lEENS8_INS9_ISB_SL_Lm2ESD_lEENSG_ILm3ElEESL_Lm3ESD_lEEii.uses_vcc, 1
	.set _ZN2at6native12_GLOBAL__N_136fractional_max_pool2d_out_cuda_frameIN3c108BFloat16EEEvN5torch10headeronly6detail27GenericPackedTensorAccessorINS7_14TensorAccessorINS3_8ArrayRefIlEET_Lm3ENS6_16DefaultPtrTraitsElEENS_6detail16IndexBoundsCheckILm4ElEESC_Lm4ESD_lEENS8_INS9_ISB_lLm3ESD_lEESH_lLm4ESD_lEENS8_INS9_ISB_KSC_Lm3ESD_lEESH_SL_Lm4ESD_lEENS8_INS9_ISB_SL_Lm2ESD_lEENSG_ILm3ElEESL_Lm3ESD_lEEii.uses_flat_scratch, 0
	.set _ZN2at6native12_GLOBAL__N_136fractional_max_pool2d_out_cuda_frameIN3c108BFloat16EEEvN5torch10headeronly6detail27GenericPackedTensorAccessorINS7_14TensorAccessorINS3_8ArrayRefIlEET_Lm3ENS6_16DefaultPtrTraitsElEENS_6detail16IndexBoundsCheckILm4ElEESC_Lm4ESD_lEENS8_INS9_ISB_lLm3ESD_lEESH_lLm4ESD_lEENS8_INS9_ISB_KSC_Lm3ESD_lEESH_SL_Lm4ESD_lEENS8_INS9_ISB_SL_Lm2ESD_lEENSG_ILm3ElEESL_Lm3ESD_lEEii.has_dyn_sized_stack, 0
	.set _ZN2at6native12_GLOBAL__N_136fractional_max_pool2d_out_cuda_frameIN3c108BFloat16EEEvN5torch10headeronly6detail27GenericPackedTensorAccessorINS7_14TensorAccessorINS3_8ArrayRefIlEET_Lm3ENS6_16DefaultPtrTraitsElEENS_6detail16IndexBoundsCheckILm4ElEESC_Lm4ESD_lEENS8_INS9_ISB_lLm3ESD_lEESH_lLm4ESD_lEENS8_INS9_ISB_KSC_Lm3ESD_lEESH_SL_Lm4ESD_lEENS8_INS9_ISB_SL_Lm2ESD_lEENSG_ILm3ElEESL_Lm3ESD_lEEii.has_recursion, 0
	.set _ZN2at6native12_GLOBAL__N_136fractional_max_pool2d_out_cuda_frameIN3c108BFloat16EEEvN5torch10headeronly6detail27GenericPackedTensorAccessorINS7_14TensorAccessorINS3_8ArrayRefIlEET_Lm3ENS6_16DefaultPtrTraitsElEENS_6detail16IndexBoundsCheckILm4ElEESC_Lm4ESD_lEENS8_INS9_ISB_lLm3ESD_lEESH_lLm4ESD_lEENS8_INS9_ISB_KSC_Lm3ESD_lEESH_SL_Lm4ESD_lEENS8_INS9_ISB_SL_Lm2ESD_lEENSG_ILm3ElEESL_Lm3ESD_lEEii.has_indirect_call, 0
	.section	.AMDGPU.csdata,"",@progbits
; Kernel info:
; codeLenInByte = 2176
; TotalNumSgprs: 26
; NumVgprs: 22
; ScratchSize: 0
; MemoryBound: 0
; FloatMode: 240
; IeeeMode: 1
; LDSByteSize: 0 bytes/workgroup (compile time only)
; SGPRBlocks: 0
; VGPRBlocks: 1
; NumSGPRsForWavesPerEU: 26
; NumVGPRsForWavesPerEU: 22
; NamedBarCnt: 0
; Occupancy: 16
; WaveLimiterHint : 1
; COMPUTE_PGM_RSRC2:SCRATCH_EN: 0
; COMPUTE_PGM_RSRC2:USER_SGPR: 2
; COMPUTE_PGM_RSRC2:TRAP_HANDLER: 0
; COMPUTE_PGM_RSRC2:TGID_X_EN: 1
; COMPUTE_PGM_RSRC2:TGID_Y_EN: 1
; COMPUTE_PGM_RSRC2:TGID_Z_EN: 1
; COMPUTE_PGM_RSRC2:TIDIG_COMP_CNT: 0
	.section	.text._ZN2at6native12_GLOBAL__N_145fractional_max_pool2d_backward_out_cuda_frameIdEEvN5torch10headeronly6detail27GenericPackedTensorAccessorINS5_14TensorAccessorIN3c108ArrayRefIlEET_Lm3ENS4_16DefaultPtrTraitsElEENS_6detail16IndexBoundsCheckILm4ElEESB_Lm4ESC_lEENS6_INS7_ISA_KSB_Lm3ESC_lEESG_SI_Lm4ESC_lEENS6_INS7_ISA_KlLm3ESC_lEESG_SL_Lm4ESC_lEE,"axG",@progbits,_ZN2at6native12_GLOBAL__N_145fractional_max_pool2d_backward_out_cuda_frameIdEEvN5torch10headeronly6detail27GenericPackedTensorAccessorINS5_14TensorAccessorIN3c108ArrayRefIlEET_Lm3ENS4_16DefaultPtrTraitsElEENS_6detail16IndexBoundsCheckILm4ElEESB_Lm4ESC_lEENS6_INS7_ISA_KSB_Lm3ESC_lEESG_SI_Lm4ESC_lEENS6_INS7_ISA_KlLm3ESC_lEESG_SL_Lm4ESC_lEE,comdat
	.globl	_ZN2at6native12_GLOBAL__N_145fractional_max_pool2d_backward_out_cuda_frameIdEEvN5torch10headeronly6detail27GenericPackedTensorAccessorINS5_14TensorAccessorIN3c108ArrayRefIlEET_Lm3ENS4_16DefaultPtrTraitsElEENS_6detail16IndexBoundsCheckILm4ElEESB_Lm4ESC_lEENS6_INS7_ISA_KSB_Lm3ESC_lEESG_SI_Lm4ESC_lEENS6_INS7_ISA_KlLm3ESC_lEESG_SL_Lm4ESC_lEE ; -- Begin function _ZN2at6native12_GLOBAL__N_145fractional_max_pool2d_backward_out_cuda_frameIdEEvN5torch10headeronly6detail27GenericPackedTensorAccessorINS5_14TensorAccessorIN3c108ArrayRefIlEET_Lm3ENS4_16DefaultPtrTraitsElEENS_6detail16IndexBoundsCheckILm4ElEESB_Lm4ESC_lEENS6_INS7_ISA_KSB_Lm3ESC_lEESG_SI_Lm4ESC_lEENS6_INS7_ISA_KlLm3ESC_lEESG_SL_Lm4ESC_lEE
	.p2align	8
	.type	_ZN2at6native12_GLOBAL__N_145fractional_max_pool2d_backward_out_cuda_frameIdEEvN5torch10headeronly6detail27GenericPackedTensorAccessorINS5_14TensorAccessorIN3c108ArrayRefIlEET_Lm3ENS4_16DefaultPtrTraitsElEENS_6detail16IndexBoundsCheckILm4ElEESB_Lm4ESC_lEENS6_INS7_ISA_KSB_Lm3ESC_lEESG_SI_Lm4ESC_lEENS6_INS7_ISA_KlLm3ESC_lEESG_SL_Lm4ESC_lEE,@function
_ZN2at6native12_GLOBAL__N_145fractional_max_pool2d_backward_out_cuda_frameIdEEvN5torch10headeronly6detail27GenericPackedTensorAccessorINS5_14TensorAccessorIN3c108ArrayRefIlEET_Lm3ENS4_16DefaultPtrTraitsElEENS_6detail16IndexBoundsCheckILm4ElEESB_Lm4ESC_lEENS6_INS7_ISA_KSB_Lm3ESC_lEESG_SI_Lm4ESC_lEENS6_INS7_ISA_KlLm3ESC_lEESG_SL_Lm4ESC_lEE: ; @_ZN2at6native12_GLOBAL__N_145fractional_max_pool2d_backward_out_cuda_frameIdEEvN5torch10headeronly6detail27GenericPackedTensorAccessorINS5_14TensorAccessorIN3c108ArrayRefIlEET_Lm3ENS4_16DefaultPtrTraitsElEENS_6detail16IndexBoundsCheckILm4ElEESB_Lm4ESC_lEENS6_INS7_ISA_KSB_Lm3ESC_lEESG_SI_Lm4ESC_lEENS6_INS7_ISA_KlLm3ESC_lEESG_SL_Lm4ESC_lEE
; %bb.0:
	s_load_b32 s2, s[0:1], 0xe4
	s_bfe_u32 s4, ttmp6, 0x4000c
	s_and_b32 s8, ttmp6, 15
	s_add_co_i32 s9, s4, 1
	s_getreg_b32 s3, hwreg(HW_REG_IB_STS2, 6, 4)
	s_mul_i32 s9, ttmp9, s9
	s_load_b128 s[4:7], s[0:1], 0x60
	s_add_co_i32 s8, s8, s9
	s_wait_kmcnt 0x0
	s_and_b32 s2, s2, 0xffff
	s_cmp_eq_u32 s3, 0
	s_cselect_b32 s8, ttmp9, s8
	s_delay_alu instid0(SALU_CYCLE_1) | instskip(SKIP_2) | instid1(VALU_DEP_1)
	v_mad_u32 v2, s8, s2, v0
	s_mul_u64 s[4:5], s[6:7], s[4:5]
	s_mov_b32 s2, exec_lo
	v_ashrrev_i32_e32 v3, 31, v2
	s_delay_alu instid0(VALU_DEP_1)
	v_cmpx_gt_i64_e64 s[4:5], v[2:3]
	s_cbranch_execz .LBB4_14
; %bb.1:
	v_dual_mov_b32 v4, 0 :: v_dual_bitop2_b32 v5, s7, v3 bitop3:0x54
                                        ; implicit-def: $vgpr0_vgpr1
	s_mov_b32 s2, exec_lo
	s_delay_alu instid0(VALU_DEP_1)
	v_cmpx_ne_u64_e32 0, v[4:5]
	s_xor_b32 s10, exec_lo, s2
	s_cbranch_execz .LBB4_3
; %bb.2:
	s_ashr_i32 s4, s7, 31
	s_mov_b32 s19, 0
	s_mov_b32 s5, s4
	v_dual_mov_b32 v9, v4 :: v_dual_ashrrev_i32 v0, 31, v3
	s_add_nc_u64 s[8:9], s[6:7], s[4:5]
	v_dual_mov_b32 v17, v4 :: v_dual_mov_b32 v5, v4
	s_xor_b64 s[8:9], s[8:9], s[4:5]
	s_delay_alu instid0(VALU_DEP_2) | instskip(SKIP_3) | instid1(VALU_DEP_1)
	v_mov_b32_e32 v1, v0
	s_cvt_f32_u32 s2, s8
	s_cvt_f32_u32 s5, s9
	s_sub_nc_u64 s[14:15], 0, s[8:9]
	v_add_nc_u64_e32 v[6:7], v[2:3], v[0:1]
	s_delay_alu instid0(SALU_CYCLE_1) | instskip(SKIP_1) | instid1(SALU_CYCLE_2)
	s_fmamk_f32 s2, s5, 0x4f800000, s2
	v_mov_b32_e32 v11, v4
	v_s_rcp_f32 s2, s2
	s_delay_alu instid0(VALU_DEP_2) | instskip(NEXT) | instid1(VALU_DEP_3)
	v_xor_b32_e32 v8, v6, v0
	v_xor_b32_e32 v10, v7, v0
	;; [unrolled: 1-line block ×3, first 2 shown]
	s_delay_alu instid0(TRANS32_DEP_1) | instskip(NEXT) | instid1(SALU_CYCLE_3)
	s_mul_f32 s2, s2, 0x5f7ffffc
	s_mul_f32 s5, s2, 0x2f800000
	s_delay_alu instid0(SALU_CYCLE_3) | instskip(NEXT) | instid1(SALU_CYCLE_3)
	s_trunc_f32 s5, s5
	s_fmamk_f32 s2, s5, 0xcf800000, s2
	s_cvt_u32_f32 s13, s5
	s_delay_alu instid0(SALU_CYCLE_2) | instskip(NEXT) | instid1(SALU_CYCLE_3)
	s_cvt_u32_f32 s12, s2
	s_mul_u64 s[16:17], s[14:15], s[12:13]
	s_delay_alu instid0(SALU_CYCLE_1)
	s_mul_hi_u32 s21, s12, s17
	s_mul_i32 s20, s12, s17
	s_mul_hi_u32 s18, s12, s16
	s_mul_i32 s5, s13, s16
	s_add_nc_u64 s[20:21], s[18:19], s[20:21]
	s_mul_hi_u32 s2, s13, s16
	s_mul_hi_u32 s11, s13, s17
	s_add_co_u32 s5, s20, s5
	s_add_co_ci_u32 s18, s21, s2
	s_mul_i32 s16, s13, s17
	s_add_co_ci_u32 s17, s11, 0
	s_delay_alu instid0(SALU_CYCLE_1) | instskip(NEXT) | instid1(SALU_CYCLE_1)
	s_add_nc_u64 s[16:17], s[18:19], s[16:17]
	s_add_co_u32 s12, s12, s16
	s_cselect_b32 s2, -1, 0
	s_delay_alu instid0(SALU_CYCLE_1) | instskip(SKIP_1) | instid1(SALU_CYCLE_1)
	s_cmp_lg_u32 s2, 0
	s_add_co_ci_u32 s13, s13, s17
	s_mul_u64 s[14:15], s[14:15], s[12:13]
	s_delay_alu instid0(SALU_CYCLE_1)
	s_mul_hi_u32 s17, s12, s15
	s_mul_i32 s16, s12, s15
	s_mul_hi_u32 s18, s12, s14
	s_mul_i32 s5, s13, s14
	s_add_nc_u64 s[16:17], s[18:19], s[16:17]
	s_mul_hi_u32 s2, s13, s14
	s_mul_hi_u32 s11, s13, s15
	s_add_co_u32 s5, s16, s5
	s_add_co_ci_u32 s18, s17, s2
	s_mul_i32 s14, s13, s15
	s_add_co_ci_u32 s15, s11, 0
	s_delay_alu instid0(SALU_CYCLE_1) | instskip(NEXT) | instid1(SALU_CYCLE_1)
	s_add_nc_u64 s[14:15], s[18:19], s[14:15]
	s_add_co_u32 s2, s12, s14
	s_cselect_b32 s5, -1, 0
	v_mul_hi_u32 v16, v8, s2
	s_cmp_lg_u32 s5, 0
	s_add_co_ci_u32 s18, s13, s15
	s_mov_b64 s[12:13], 0xffffffff
	v_mul_u64_e32 v[12:13], s[18:19], v[8:9]
	s_and_b64 s[12:13], s[2:3], s[12:13]
	v_mul_u64_e32 v[14:15], s[18:19], v[10:11]
	v_mul_u64_e32 v[6:7], s[12:13], v[10:11]
	s_delay_alu instid0(VALU_DEP_3) | instskip(NEXT) | instid1(VALU_DEP_1)
	v_add_nc_u64_e32 v[12:13], v[16:17], v[12:13]
	v_add_co_u32 v1, vcc_lo, v12, v6
	s_delay_alu instid0(VALU_DEP_2) | instskip(SKIP_1) | instid1(VALU_DEP_1)
	v_add_co_ci_u32_e32 v4, vcc_lo, v13, v7, vcc_lo
	v_add_co_ci_u32_e32 v15, vcc_lo, 0, v15, vcc_lo
	v_add_nc_u64_e32 v[4:5], v[4:5], v[14:15]
	s_delay_alu instid0(VALU_DEP_1) | instskip(NEXT) | instid1(VALU_DEP_1)
	v_mul_u64_e32 v[6:7], s[8:9], v[4:5]
	v_sub_nc_u32_e32 v1, v10, v7
	s_delay_alu instid0(VALU_DEP_2) | instskip(NEXT) | instid1(VALU_DEP_1)
	v_sub_co_u32 v6, vcc_lo, v8, v6
	v_sub_co_ci_u32_e64 v10, null, v10, v7, vcc_lo
	s_delay_alu instid0(VALU_DEP_3) | instskip(NEXT) | instid1(VALU_DEP_3)
	v_subrev_co_ci_u32_e64 v1, null, s9, v1, vcc_lo
	v_sub_co_u32 v8, s2, v6, s8
	s_delay_alu instid0(VALU_DEP_1) | instskip(NEXT) | instid1(VALU_DEP_2)
	v_subrev_co_ci_u32_e64 v1, null, 0, v1, s2
	v_cmp_le_u32_e32 vcc_lo, s8, v8
	v_cndmask_b32_e64 v7, 0, -1, vcc_lo
	s_delay_alu instid0(VALU_DEP_3)
	v_cmp_le_u32_e32 vcc_lo, s9, v1
	v_cndmask_b32_e64 v8, 0, -1, vcc_lo
	v_cmp_le_u32_e32 vcc_lo, s8, v6
	v_cndmask_b32_e64 v11, 0, -1, vcc_lo
	;; [unrolled: 2-line block ×3, first 2 shown]
	v_cmp_eq_u32_e32 vcc_lo, s9, v1
	v_cndmask_b32_e32 v1, v8, v7, vcc_lo
	v_cmp_eq_u32_e32 vcc_lo, s9, v10
	v_add_nc_u64_e32 v[6:7], 2, v[4:5]
	v_add_nc_u64_e32 v[8:9], 1, v[4:5]
	v_cndmask_b32_e32 v10, v12, v11, vcc_lo
	v_cmp_ne_u32_e32 vcc_lo, 0, v1
	s_delay_alu instid0(VALU_DEP_2) | instskip(NEXT) | instid1(VALU_DEP_4)
	v_cmp_ne_u32_e64 s2, 0, v10
	v_dual_cndmask_b32 v6, v8, v6 :: v_dual_cndmask_b32 v1, v9, v7
	s_delay_alu instid0(VALU_DEP_1) | instskip(SKIP_1) | instid1(VALU_DEP_2)
	v_dual_cndmask_b32 v4, v4, v6, s2 :: v_dual_cndmask_b32 v5, v5, v1, s2
	v_mov_b32_e32 v1, v0
	v_xor_b32_e32 v4, v4, v0
	s_delay_alu instid0(VALU_DEP_3) | instskip(NEXT) | instid1(VALU_DEP_1)
	v_xor_b32_e32 v5, v5, v0
	v_sub_nc_u64_e32 v[0:1], v[4:5], v[0:1]
.LBB4_3:
	s_and_not1_saveexec_b32 s2, s10
	s_cbranch_execz .LBB4_5
; %bb.4:
	v_cvt_f32_u32_e32 v0, s6
	s_sub_co_i32 s4, 0, s6
	s_delay_alu instid0(VALU_DEP_1) | instskip(SKIP_1) | instid1(TRANS32_DEP_1)
	v_rcp_iflag_f32_e32 v0, v0
	v_nop
	v_mul_f32_e32 v0, 0x4f7ffffe, v0
	s_delay_alu instid0(VALU_DEP_1) | instskip(NEXT) | instid1(VALU_DEP_1)
	v_cvt_u32_f32_e32 v0, v0
	v_mul_lo_u32 v1, s4, v0
	s_delay_alu instid0(VALU_DEP_1) | instskip(NEXT) | instid1(VALU_DEP_1)
	v_mul_hi_u32 v1, v0, v1
	v_add_nc_u32_e32 v0, v0, v1
	s_delay_alu instid0(VALU_DEP_1) | instskip(NEXT) | instid1(VALU_DEP_1)
	v_mul_hi_u32 v0, v2, v0
	v_mul_lo_u32 v1, v0, s6
	s_delay_alu instid0(VALU_DEP_1) | instskip(NEXT) | instid1(VALU_DEP_1)
	v_sub_nc_u32_e32 v1, v2, v1
	v_subrev_nc_u32_e32 v5, s6, v1
	v_cmp_le_u32_e32 vcc_lo, s6, v1
	s_delay_alu instid0(VALU_DEP_2) | instskip(NEXT) | instid1(VALU_DEP_1)
	v_dual_cndmask_b32 v1, v1, v5 :: v_dual_add_nc_u32 v4, 1, v0
	v_cndmask_b32_e32 v0, v0, v4, vcc_lo
	s_delay_alu instid0(VALU_DEP_2) | instskip(NEXT) | instid1(VALU_DEP_2)
	v_cmp_le_u32_e32 vcc_lo, s6, v1
	v_dual_mov_b32 v1, 0 :: v_dual_add_nc_u32 v4, 1, v0
	s_delay_alu instid0(VALU_DEP_1)
	v_cndmask_b32_e32 v0, v0, v4, vcc_lo
.LBB4_5:
	s_or_b32 exec_lo, exec_lo, s2
	s_delay_alu instid0(VALU_DEP_1)
	v_mul_u64_e32 v[4:5], s[6:7], v[0:1]
	s_load_b256 s[8:15], s[0:1], 0xb8
	v_ashrrev_i32_e32 v1, 31, v0
	s_bfe_u32 s2, ttmp6, 0x40010
	s_bfe_u32 s4, ttmp6, 0x40014
	s_and_b32 s6, ttmp7, 0xffff
	s_add_co_i32 s2, s2, 1
	s_lshr_b32 s7, ttmp7, 16
	s_add_co_i32 s4, s4, 1
	s_mul_i32 s2, s6, s2
	s_bfe_u32 s5, ttmp6, 0x40004
	s_mul_i32 s4, s7, s4
	s_delay_alu instid0(VALU_DEP_2) | instskip(SKIP_3) | instid1(VALU_DEP_2)
	v_sub_nc_u64_e32 v[2:3], v[2:3], v[4:5]
	s_wait_kmcnt 0x0
	v_mul_u64_e32 v[4:5], s[12:13], v[0:1]
	s_load_b64 s[12:13], s[0:1], 0x90
	v_mul_u64_e32 v[6:7], s[14:15], v[2:3]
	s_bfe_u32 s14, ttmp6, 0x40008
	s_add_co_i32 s15, s5, s2
	s_add_co_i32 s14, s14, s4
	s_cmp_eq_u32 s3, 0
	s_mov_b32 s5, 0
	s_cselect_b32 s4, s7, s14
	s_cselect_b32 s6, s6, s15
	s_mul_u64 s[2:3], s[8:9], s[4:5]
	s_mov_b32 s7, s5
	s_lshl_b64 s[2:3], s[2:3], 3
	s_mul_u64 s[8:9], s[10:11], s[6:7]
	s_mov_b32 s14, s5
	s_lshl_b64 s[8:9], s[8:9], 3
	s_wait_kmcnt 0x0
	s_add_nc_u64 s[2:3], s[12:13], s[2:3]
	s_delay_alu instid0(SALU_CYCLE_1)
	s_add_nc_u64 s[2:3], s[2:3], s[8:9]
	s_delay_alu instid0(VALU_DEP_2) | instid1(SALU_CYCLE_1)
	v_lshl_add_u64 v[4:5], v[4:5], 3, s[2:3]
	s_mov_b32 s2, exec_lo
	s_delay_alu instid0(VALU_DEP_1) | instskip(SKIP_3) | instid1(VALU_DEP_1)
	v_lshl_add_u64 v[4:5], v[6:7], 3, v[4:5]
	global_load_b64 v[10:11], v[4:5], off
	s_wait_loadcnt 0x0
	v_and_b32_e32 v4, 0x80000000, v10
	v_cmpx_ne_u32_e32 0, v4
	s_xor_b32 s2, exec_lo, s2
	s_cbranch_execnz .LBB4_16
; %bb.6:
	s_or_saveexec_b32 s15, s2
	s_mov_b32 s2, s5
                                        ; implicit-def: $vgpr6_vgpr7
                                        ; implicit-def: $vgpr8_vgpr9
                                        ; implicit-def: $vgpr4_vgpr5
	s_xor_b32 exec_lo, exec_lo, s15
	s_cbranch_execz .LBB4_17
.LBB4_7:
	s_load_b64 s[8:9], s[0:1], 0x20
	v_and_b32_e32 v4, 0x7fffffff, v10
	v_mov_b32_e32 v5, 0
	s_wait_kmcnt 0x0
	s_and_b64 s[2:3], s[8:9], 0xffffffff00000000
	s_delay_alu instid0(SALU_CYCLE_1)
	s_cmp_lg_u64 s[2:3], 0
	s_cbranch_scc0 .LBB4_15
; %bb.8:
	s_ashr_i32 s10, s9, 31
	v_add_nc_u64_e32 v[6:7], 0, v[4:5]
	s_mov_b32 s11, s10
	v_mov_b32_e32 v9, v5
	s_add_nc_u64 s[2:3], s[8:9], s[10:11]
	v_mov_b32_e32 v11, v5
	s_xor_b64 s[12:13], s[2:3], s[10:11]
	v_mov_b32_e32 v15, v5
	s_cvt_f32_u32 s2, s12
	s_cvt_f32_u32 s3, s13
	s_sub_nc_u64 s[18:19], 0, s[12:13]
	v_dual_mov_b32 v8, v6 :: v_dual_mov_b32 v10, v7
	s_delay_alu instid0(SALU_CYCLE_1) | instskip(NEXT) | instid1(SALU_CYCLE_3)
	s_fmamk_f32 s2, s3, 0x4f800000, s2
	v_s_rcp_f32 s2, s2
	s_delay_alu instid0(TRANS32_DEP_1) | instskip(NEXT) | instid1(SALU_CYCLE_3)
	s_mul_f32 s2, s2, 0x5f7ffffc
	s_mul_f32 s3, s2, 0x2f800000
	s_delay_alu instid0(SALU_CYCLE_3) | instskip(NEXT) | instid1(SALU_CYCLE_3)
	s_trunc_f32 s3, s3
	s_fmamk_f32 s2, s3, 0xcf800000, s2
	s_cvt_u32_f32 s17, s3
	s_mov_b32 s3, 0
	s_delay_alu instid0(SALU_CYCLE_1) | instskip(NEXT) | instid1(SALU_CYCLE_3)
	s_cvt_u32_f32 s16, s2
	s_mul_u64 s[20:21], s[18:19], s[16:17]
	s_delay_alu instid0(SALU_CYCLE_1)
	s_mul_hi_u32 s23, s16, s21
	s_mul_i32 s22, s16, s21
	s_mul_hi_u32 s2, s16, s20
	s_mul_i32 s24, s17, s20
	s_add_nc_u64 s[22:23], s[2:3], s[22:23]
	s_mul_hi_u32 s11, s17, s20
	s_mul_hi_u32 s25, s17, s21
	s_add_co_u32 s2, s22, s24
	s_add_co_ci_u32 s2, s23, s11
	s_mul_i32 s20, s17, s21
	s_add_co_ci_u32 s21, s25, 0
	s_delay_alu instid0(SALU_CYCLE_1) | instskip(NEXT) | instid1(SALU_CYCLE_1)
	s_add_nc_u64 s[20:21], s[2:3], s[20:21]
	s_add_co_u32 s16, s16, s20
	s_cselect_b32 s2, -1, 0
	s_delay_alu instid0(SALU_CYCLE_1) | instskip(SKIP_1) | instid1(SALU_CYCLE_1)
	s_cmp_lg_u32 s2, 0
	s_add_co_ci_u32 s17, s17, s21
	s_mul_u64 s[18:19], s[18:19], s[16:17]
	s_delay_alu instid0(SALU_CYCLE_1)
	s_mul_hi_u32 s21, s16, s19
	s_mul_i32 s20, s16, s19
	s_mul_hi_u32 s2, s16, s18
	s_mul_i32 s22, s17, s18
	s_add_nc_u64 s[20:21], s[2:3], s[20:21]
	s_mul_hi_u32 s11, s17, s18
	s_mul_hi_u32 s23, s17, s19
	s_add_co_u32 s2, s20, s22
	s_add_co_ci_u32 s2, s21, s11
	s_mul_i32 s18, s17, s19
	s_add_co_ci_u32 s19, s23, 0
	s_delay_alu instid0(SALU_CYCLE_1) | instskip(NEXT) | instid1(SALU_CYCLE_1)
	s_add_nc_u64 s[18:19], s[2:3], s[18:19]
	s_add_co_u32 s16, s16, s18
	s_cselect_b32 s2, -1, 0
	v_mul_hi_u32 v14, v6, s16
	s_cmp_lg_u32 s2, 0
	s_add_co_ci_u32 s2, s17, s19
	s_mov_b64 s[18:19], 0xffffffff
	v_mul_u64_e32 v[8:9], s[2:3], v[8:9]
	s_and_b64 s[18:19], s[16:17], s[18:19]
	s_delay_alu instid0(SALU_CYCLE_1) | instskip(SKIP_1) | instid1(VALU_DEP_3)
	v_mul_u64_e32 v[12:13], s[18:19], v[10:11]
	v_mul_u64_e32 v[10:11], s[2:3], v[10:11]
	v_add_nc_u64_e32 v[8:9], v[14:15], v[8:9]
	s_delay_alu instid0(VALU_DEP_1) | instskip(NEXT) | instid1(VALU_DEP_2)
	v_add_co_u32 v8, vcc_lo, v8, v12
	v_add_co_ci_u32_e32 v14, vcc_lo, v9, v13, vcc_lo
	s_delay_alu instid0(VALU_DEP_4) | instskip(NEXT) | instid1(VALU_DEP_1)
	v_add_co_ci_u32_e32 v11, vcc_lo, 0, v11, vcc_lo
	v_add_nc_u64_e32 v[8:9], v[14:15], v[10:11]
	s_delay_alu instid0(VALU_DEP_1) | instskip(NEXT) | instid1(VALU_DEP_1)
	v_mul_u64_e32 v[10:11], s[12:13], v[8:9]
	v_sub_nc_u32_e32 v12, v7, v11
	s_delay_alu instid0(VALU_DEP_2) | instskip(NEXT) | instid1(VALU_DEP_1)
	v_sub_co_u32 v6, vcc_lo, v6, v10
	v_sub_co_ci_u32_e64 v11, null, v7, v11, vcc_lo
	s_delay_alu instid0(VALU_DEP_3) | instskip(NEXT) | instid1(VALU_DEP_3)
	v_subrev_co_ci_u32_e64 v10, null, s13, v12, vcc_lo
	v_sub_co_u32 v14, s2, v6, s12
	v_cmp_le_u32_e32 vcc_lo, s12, v6
	s_delay_alu instid0(VALU_DEP_3) | instskip(NEXT) | instid1(VALU_DEP_3)
	v_subrev_co_ci_u32_e64 v10, null, 0, v10, s2
	v_cmp_le_u32_e64 s2, s12, v14
	v_add_nc_u64_e32 v[12:13], 2, v[8:9]
	v_cndmask_b32_e64 v16, 0, -1, vcc_lo
	s_delay_alu instid0(VALU_DEP_4) | instskip(SKIP_3) | instid1(VALU_DEP_1)
	v_cmp_eq_u32_e32 vcc_lo, s13, v10
	v_add_nc_u64_e32 v[6:7], 1, v[8:9]
	v_cndmask_b32_e64 v14, 0, -1, s2
	v_cmp_le_u32_e64 s2, s13, v10
	v_cndmask_b32_e64 v15, 0, -1, s2
	v_cmp_eq_u32_e64 s2, s13, v11
	s_delay_alu instid0(VALU_DEP_2) | instskip(SKIP_2) | instid1(VALU_DEP_3)
	v_cndmask_b32_e32 v10, v15, v14, vcc_lo
	v_cmp_le_u32_e32 vcc_lo, s13, v11
	v_cndmask_b32_e64 v14, 0, -1, vcc_lo
	v_cmp_ne_u32_e32 vcc_lo, 0, v10
	s_delay_alu instid0(VALU_DEP_2) | instskip(SKIP_1) | instid1(VALU_DEP_2)
	v_dual_cndmask_b32 v10, v14, v16, s2 :: v_dual_cndmask_b32 v7, v7, v13, vcc_lo
	v_cndmask_b32_e32 v6, v6, v12, vcc_lo
	v_cmp_ne_u32_e32 vcc_lo, 0, v10
	s_delay_alu instid0(VALU_DEP_2) | instskip(SKIP_1) | instid1(VALU_DEP_2)
	v_dual_cndmask_b32 v9, v9, v7 :: v_dual_cndmask_b32 v8, v8, v6
	v_dual_mov_b32 v7, s10 :: v_dual_mov_b32 v6, s10
	v_xor_b32_e32 v9, s10, v9
	s_delay_alu instid0(VALU_DEP_3) | instskip(NEXT) | instid1(VALU_DEP_1)
	v_xor_b32_e32 v8, s10, v8
	v_sub_nc_u64_e32 v[6:7], v[8:9], v[6:7]
	s_cbranch_execnz .LBB4_10
.LBB4_9:
	v_cvt_f32_u32_e32 v6, s8
	s_sub_co_i32 s2, 0, s8
	s_delay_alu instid0(VALU_DEP_1) | instskip(SKIP_1) | instid1(TRANS32_DEP_1)
	v_rcp_iflag_f32_e32 v6, v6
	v_nop
	v_mul_f32_e32 v6, 0x4f7ffffe, v6
	s_delay_alu instid0(VALU_DEP_1) | instskip(NEXT) | instid1(VALU_DEP_1)
	v_cvt_u32_f32_e32 v6, v6
	v_mul_lo_u32 v7, s2, v6
	s_delay_alu instid0(VALU_DEP_1) | instskip(NEXT) | instid1(VALU_DEP_1)
	v_mul_hi_u32 v7, v6, v7
	v_add_nc_u32_e32 v6, v6, v7
	s_delay_alu instid0(VALU_DEP_1) | instskip(NEXT) | instid1(VALU_DEP_1)
	v_mul_hi_u32 v6, v4, v6
	v_mul_lo_u32 v7, v6, s8
	s_delay_alu instid0(VALU_DEP_1) | instskip(NEXT) | instid1(VALU_DEP_1)
	v_dual_add_nc_u32 v8, 1, v6 :: v_dual_sub_nc_u32 v7, v4, v7
	v_subrev_nc_u32_e32 v9, s8, v7
	v_cmp_le_u32_e32 vcc_lo, s8, v7
	s_delay_alu instid0(VALU_DEP_2) | instskip(NEXT) | instid1(VALU_DEP_1)
	v_dual_cndmask_b32 v7, v7, v9 :: v_dual_cndmask_b32 v6, v6, v8
	v_cmp_le_u32_e32 vcc_lo, s8, v7
	s_delay_alu instid0(VALU_DEP_2) | instskip(NEXT) | instid1(VALU_DEP_1)
	v_dual_mov_b32 v7, 0 :: v_dual_add_nc_u32 v8, 1, v6
	v_cndmask_b32_e32 v6, v6, v8, vcc_lo
.LBB4_10:
	s_load_b64 s[2:3], s[0:1], 0x18
	s_wait_kmcnt 0x0
	s_delay_alu instid0(VALU_DEP_1)
	v_cmp_le_i64_e32 vcc_lo, s[2:3], v[6:7]
	s_mov_b32 s2, -1
	s_mov_b32 s3, s14
	s_and_saveexec_b32 s10, vcc_lo
	s_cbranch_execnz .LBB4_19
.LBB4_11:
	s_or_b32 exec_lo, exec_lo, s10
	v_mov_b64_e32 v[8:9], s[8:9]
	s_and_not1_b32 s8, s14, exec_lo
	s_and_b32 s3, s3, exec_lo
	s_and_b32 s2, s2, exec_lo
	s_or_b32 s14, s8, s3
	s_or_b32 exec_lo, exec_lo, s15
	s_and_saveexec_b32 s3, s14
	s_cbranch_execnz .LBB4_18
.LBB4_12:
	s_or_b32 exec_lo, exec_lo, s3
	s_delay_alu instid0(SALU_CYCLE_1)
	s_and_b32 exec_lo, exec_lo, s2
	s_cbranch_execz .LBB4_14
.LBB4_13:
	s_clause 0x1
	s_load_b256 s[8:15], s[0:1], 0x70
	s_load_b64 s[2:3], s[0:1], 0x48
	s_wait_kmcnt 0x0
	v_mul_u64_e32 v[0:1], s[12:13], v[0:1]
	v_mul_u64_e32 v[2:3], s[14:15], v[2:3]
	s_mul_u64 s[8:9], s[8:9], s[4:5]
	s_mul_u64 s[10:11], s[10:11], s[6:7]
	s_lshl_b64 s[8:9], s[8:9], 3
	s_delay_alu instid0(SALU_CYCLE_1) | instskip(SKIP_1) | instid1(SALU_CYCLE_1)
	s_add_nc_u64 s[2:3], s[2:3], s[8:9]
	s_lshl_b64 s[8:9], s[10:11], 3
	s_add_nc_u64 s[2:3], s[2:3], s[8:9]
	s_load_b256 s[8:15], s[0:1], 0x28
	s_delay_alu instid0(VALU_DEP_2)
	v_lshl_add_u64 v[0:1], v[0:1], 3, s[2:3]
	s_wait_xcnt 0x0
	s_load_b64 s[0:1], s[0:1], 0x0
	s_wait_kmcnt 0x0
	s_mul_u64 s[2:3], s[8:9], s[4:5]
	s_mul_u64 s[4:5], s[10:11], s[6:7]
	s_lshl_b64 s[2:3], s[2:3], 3
	s_delay_alu instid0(VALU_DEP_2) | instskip(SKIP_4) | instid1(SALU_CYCLE_1)
	v_lshl_add_u64 v[0:1], v[2:3], 3, v[0:1]
	v_mul_u64_e32 v[2:3], v[6:7], v[8:9]
	global_load_b64 v[0:1], v[0:1], off
	s_add_nc_u64 s[0:1], s[0:1], s[2:3]
	s_lshl_b64 s[2:3], s[4:5], 3
	s_add_nc_u64 s[0:1], s[0:1], s[2:3]
	v_sub_nc_u64_e32 v[2:3], v[4:5], v[2:3]
	v_mul_u64_e32 v[4:5], s[12:13], v[6:7]
	s_delay_alu instid0(VALU_DEP_2) | instskip(NEXT) | instid1(VALU_DEP_2)
	v_mul_u64_e32 v[2:3], s[14:15], v[2:3]
	v_lshl_add_u64 v[4:5], v[4:5], 3, s[0:1]
	s_delay_alu instid0(VALU_DEP_1)
	v_lshl_add_u64 v[2:3], v[2:3], 3, v[4:5]
	s_wait_xcnt 0x0
	s_wait_loadcnt 0x0
	global_atomic_add_f64 v[2:3], v[0:1], off scope:SCOPE_DEV
.LBB4_14:
	s_endpgm
.LBB4_15:
                                        ; implicit-def: $vgpr6_vgpr7
	s_branch .LBB4_9
.LBB4_16:
	s_mov_b32 s14, exec_lo
	s_trap 2
                                        ; implicit-def: $vgpr10_vgpr11
	s_or_saveexec_b32 s15, s2
	s_mov_b32 s2, s5
                                        ; implicit-def: $vgpr6_vgpr7
                                        ; implicit-def: $vgpr8_vgpr9
                                        ; implicit-def: $vgpr4_vgpr5
	s_xor_b32 exec_lo, exec_lo, s15
	s_cbranch_execnz .LBB4_7
.LBB4_17:
	s_or_b32 exec_lo, exec_lo, s15
	s_and_saveexec_b32 s3, s14
	s_cbranch_execz .LBB4_12
.LBB4_18:
	; divergent unreachable
	s_or_b32 exec_lo, exec_lo, s3
	s_delay_alu instid0(SALU_CYCLE_1)
	s_and_b32 exec_lo, exec_lo, s2
	s_cbranch_execnz .LBB4_13
	s_branch .LBB4_14
.LBB4_19:
	s_xor_b32 s2, exec_lo, -1
	s_or_b32 s3, s14, exec_lo
	s_trap 2
	s_branch .LBB4_11
	.section	.rodata,"a",@progbits
	.p2align	6, 0x0
	.amdhsa_kernel _ZN2at6native12_GLOBAL__N_145fractional_max_pool2d_backward_out_cuda_frameIdEEvN5torch10headeronly6detail27GenericPackedTensorAccessorINS5_14TensorAccessorIN3c108ArrayRefIlEET_Lm3ENS4_16DefaultPtrTraitsElEENS_6detail16IndexBoundsCheckILm4ElEESB_Lm4ESC_lEENS6_INS7_ISA_KSB_Lm3ESC_lEESG_SI_Lm4ESC_lEENS6_INS7_ISA_KlLm3ESC_lEESG_SL_Lm4ESC_lEE
		.amdhsa_group_segment_fixed_size 0
		.amdhsa_private_segment_fixed_size 0
		.amdhsa_kernarg_size 472
		.amdhsa_user_sgpr_count 2
		.amdhsa_user_sgpr_dispatch_ptr 0
		.amdhsa_user_sgpr_queue_ptr 0
		.amdhsa_user_sgpr_kernarg_segment_ptr 1
		.amdhsa_user_sgpr_dispatch_id 0
		.amdhsa_user_sgpr_kernarg_preload_length 0
		.amdhsa_user_sgpr_kernarg_preload_offset 0
		.amdhsa_user_sgpr_private_segment_size 0
		.amdhsa_wavefront_size32 1
		.amdhsa_uses_dynamic_stack 0
		.amdhsa_enable_private_segment 0
		.amdhsa_system_sgpr_workgroup_id_x 1
		.amdhsa_system_sgpr_workgroup_id_y 1
		.amdhsa_system_sgpr_workgroup_id_z 1
		.amdhsa_system_sgpr_workgroup_info 0
		.amdhsa_system_vgpr_workitem_id 0
		.amdhsa_next_free_vgpr 18
		.amdhsa_next_free_sgpr 26
		.amdhsa_named_barrier_count 0
		.amdhsa_reserve_vcc 1
		.amdhsa_float_round_mode_32 0
		.amdhsa_float_round_mode_16_64 0
		.amdhsa_float_denorm_mode_32 3
		.amdhsa_float_denorm_mode_16_64 3
		.amdhsa_fp16_overflow 0
		.amdhsa_memory_ordered 1
		.amdhsa_forward_progress 1
		.amdhsa_inst_pref_size 18
		.amdhsa_round_robin_scheduling 0
		.amdhsa_exception_fp_ieee_invalid_op 0
		.amdhsa_exception_fp_denorm_src 0
		.amdhsa_exception_fp_ieee_div_zero 0
		.amdhsa_exception_fp_ieee_overflow 0
		.amdhsa_exception_fp_ieee_underflow 0
		.amdhsa_exception_fp_ieee_inexact 0
		.amdhsa_exception_int_div_zero 0
	.end_amdhsa_kernel
	.section	.text._ZN2at6native12_GLOBAL__N_145fractional_max_pool2d_backward_out_cuda_frameIdEEvN5torch10headeronly6detail27GenericPackedTensorAccessorINS5_14TensorAccessorIN3c108ArrayRefIlEET_Lm3ENS4_16DefaultPtrTraitsElEENS_6detail16IndexBoundsCheckILm4ElEESB_Lm4ESC_lEENS6_INS7_ISA_KSB_Lm3ESC_lEESG_SI_Lm4ESC_lEENS6_INS7_ISA_KlLm3ESC_lEESG_SL_Lm4ESC_lEE,"axG",@progbits,_ZN2at6native12_GLOBAL__N_145fractional_max_pool2d_backward_out_cuda_frameIdEEvN5torch10headeronly6detail27GenericPackedTensorAccessorINS5_14TensorAccessorIN3c108ArrayRefIlEET_Lm3ENS4_16DefaultPtrTraitsElEENS_6detail16IndexBoundsCheckILm4ElEESB_Lm4ESC_lEENS6_INS7_ISA_KSB_Lm3ESC_lEESG_SI_Lm4ESC_lEENS6_INS7_ISA_KlLm3ESC_lEESG_SL_Lm4ESC_lEE,comdat
.Lfunc_end4:
	.size	_ZN2at6native12_GLOBAL__N_145fractional_max_pool2d_backward_out_cuda_frameIdEEvN5torch10headeronly6detail27GenericPackedTensorAccessorINS5_14TensorAccessorIN3c108ArrayRefIlEET_Lm3ENS4_16DefaultPtrTraitsElEENS_6detail16IndexBoundsCheckILm4ElEESB_Lm4ESC_lEENS6_INS7_ISA_KSB_Lm3ESC_lEESG_SI_Lm4ESC_lEENS6_INS7_ISA_KlLm3ESC_lEESG_SL_Lm4ESC_lEE, .Lfunc_end4-_ZN2at6native12_GLOBAL__N_145fractional_max_pool2d_backward_out_cuda_frameIdEEvN5torch10headeronly6detail27GenericPackedTensorAccessorINS5_14TensorAccessorIN3c108ArrayRefIlEET_Lm3ENS4_16DefaultPtrTraitsElEENS_6detail16IndexBoundsCheckILm4ElEESB_Lm4ESC_lEENS6_INS7_ISA_KSB_Lm3ESC_lEESG_SI_Lm4ESC_lEENS6_INS7_ISA_KlLm3ESC_lEESG_SL_Lm4ESC_lEE
                                        ; -- End function
	.set _ZN2at6native12_GLOBAL__N_145fractional_max_pool2d_backward_out_cuda_frameIdEEvN5torch10headeronly6detail27GenericPackedTensorAccessorINS5_14TensorAccessorIN3c108ArrayRefIlEET_Lm3ENS4_16DefaultPtrTraitsElEENS_6detail16IndexBoundsCheckILm4ElEESB_Lm4ESC_lEENS6_INS7_ISA_KSB_Lm3ESC_lEESG_SI_Lm4ESC_lEENS6_INS7_ISA_KlLm3ESC_lEESG_SL_Lm4ESC_lEE.num_vgpr, 18
	.set _ZN2at6native12_GLOBAL__N_145fractional_max_pool2d_backward_out_cuda_frameIdEEvN5torch10headeronly6detail27GenericPackedTensorAccessorINS5_14TensorAccessorIN3c108ArrayRefIlEET_Lm3ENS4_16DefaultPtrTraitsElEENS_6detail16IndexBoundsCheckILm4ElEESB_Lm4ESC_lEENS6_INS7_ISA_KSB_Lm3ESC_lEESG_SI_Lm4ESC_lEENS6_INS7_ISA_KlLm3ESC_lEESG_SL_Lm4ESC_lEE.num_agpr, 0
	.set _ZN2at6native12_GLOBAL__N_145fractional_max_pool2d_backward_out_cuda_frameIdEEvN5torch10headeronly6detail27GenericPackedTensorAccessorINS5_14TensorAccessorIN3c108ArrayRefIlEET_Lm3ENS4_16DefaultPtrTraitsElEENS_6detail16IndexBoundsCheckILm4ElEESB_Lm4ESC_lEENS6_INS7_ISA_KSB_Lm3ESC_lEESG_SI_Lm4ESC_lEENS6_INS7_ISA_KlLm3ESC_lEESG_SL_Lm4ESC_lEE.numbered_sgpr, 26
	.set _ZN2at6native12_GLOBAL__N_145fractional_max_pool2d_backward_out_cuda_frameIdEEvN5torch10headeronly6detail27GenericPackedTensorAccessorINS5_14TensorAccessorIN3c108ArrayRefIlEET_Lm3ENS4_16DefaultPtrTraitsElEENS_6detail16IndexBoundsCheckILm4ElEESB_Lm4ESC_lEENS6_INS7_ISA_KSB_Lm3ESC_lEESG_SI_Lm4ESC_lEENS6_INS7_ISA_KlLm3ESC_lEESG_SL_Lm4ESC_lEE.num_named_barrier, 0
	.set _ZN2at6native12_GLOBAL__N_145fractional_max_pool2d_backward_out_cuda_frameIdEEvN5torch10headeronly6detail27GenericPackedTensorAccessorINS5_14TensorAccessorIN3c108ArrayRefIlEET_Lm3ENS4_16DefaultPtrTraitsElEENS_6detail16IndexBoundsCheckILm4ElEESB_Lm4ESC_lEENS6_INS7_ISA_KSB_Lm3ESC_lEESG_SI_Lm4ESC_lEENS6_INS7_ISA_KlLm3ESC_lEESG_SL_Lm4ESC_lEE.private_seg_size, 0
	.set _ZN2at6native12_GLOBAL__N_145fractional_max_pool2d_backward_out_cuda_frameIdEEvN5torch10headeronly6detail27GenericPackedTensorAccessorINS5_14TensorAccessorIN3c108ArrayRefIlEET_Lm3ENS4_16DefaultPtrTraitsElEENS_6detail16IndexBoundsCheckILm4ElEESB_Lm4ESC_lEENS6_INS7_ISA_KSB_Lm3ESC_lEESG_SI_Lm4ESC_lEENS6_INS7_ISA_KlLm3ESC_lEESG_SL_Lm4ESC_lEE.uses_vcc, 1
	.set _ZN2at6native12_GLOBAL__N_145fractional_max_pool2d_backward_out_cuda_frameIdEEvN5torch10headeronly6detail27GenericPackedTensorAccessorINS5_14TensorAccessorIN3c108ArrayRefIlEET_Lm3ENS4_16DefaultPtrTraitsElEENS_6detail16IndexBoundsCheckILm4ElEESB_Lm4ESC_lEENS6_INS7_ISA_KSB_Lm3ESC_lEESG_SI_Lm4ESC_lEENS6_INS7_ISA_KlLm3ESC_lEESG_SL_Lm4ESC_lEE.uses_flat_scratch, 0
	.set _ZN2at6native12_GLOBAL__N_145fractional_max_pool2d_backward_out_cuda_frameIdEEvN5torch10headeronly6detail27GenericPackedTensorAccessorINS5_14TensorAccessorIN3c108ArrayRefIlEET_Lm3ENS4_16DefaultPtrTraitsElEENS_6detail16IndexBoundsCheckILm4ElEESB_Lm4ESC_lEENS6_INS7_ISA_KSB_Lm3ESC_lEESG_SI_Lm4ESC_lEENS6_INS7_ISA_KlLm3ESC_lEESG_SL_Lm4ESC_lEE.has_dyn_sized_stack, 0
	.set _ZN2at6native12_GLOBAL__N_145fractional_max_pool2d_backward_out_cuda_frameIdEEvN5torch10headeronly6detail27GenericPackedTensorAccessorINS5_14TensorAccessorIN3c108ArrayRefIlEET_Lm3ENS4_16DefaultPtrTraitsElEENS_6detail16IndexBoundsCheckILm4ElEESB_Lm4ESC_lEENS6_INS7_ISA_KSB_Lm3ESC_lEESG_SI_Lm4ESC_lEENS6_INS7_ISA_KlLm3ESC_lEESG_SL_Lm4ESC_lEE.has_recursion, 0
	.set _ZN2at6native12_GLOBAL__N_145fractional_max_pool2d_backward_out_cuda_frameIdEEvN5torch10headeronly6detail27GenericPackedTensorAccessorINS5_14TensorAccessorIN3c108ArrayRefIlEET_Lm3ENS4_16DefaultPtrTraitsElEENS_6detail16IndexBoundsCheckILm4ElEESB_Lm4ESC_lEENS6_INS7_ISA_KSB_Lm3ESC_lEESG_SI_Lm4ESC_lEENS6_INS7_ISA_KlLm3ESC_lEESG_SL_Lm4ESC_lEE.has_indirect_call, 0
	.section	.AMDGPU.csdata,"",@progbits
; Kernel info:
; codeLenInByte = 2236
; TotalNumSgprs: 28
; NumVgprs: 18
; ScratchSize: 0
; MemoryBound: 0
; FloatMode: 240
; IeeeMode: 1
; LDSByteSize: 0 bytes/workgroup (compile time only)
; SGPRBlocks: 0
; VGPRBlocks: 1
; NumSGPRsForWavesPerEU: 28
; NumVGPRsForWavesPerEU: 18
; NamedBarCnt: 0
; Occupancy: 16
; WaveLimiterHint : 1
; COMPUTE_PGM_RSRC2:SCRATCH_EN: 0
; COMPUTE_PGM_RSRC2:USER_SGPR: 2
; COMPUTE_PGM_RSRC2:TRAP_HANDLER: 0
; COMPUTE_PGM_RSRC2:TGID_X_EN: 1
; COMPUTE_PGM_RSRC2:TGID_Y_EN: 1
; COMPUTE_PGM_RSRC2:TGID_Z_EN: 1
; COMPUTE_PGM_RSRC2:TIDIG_COMP_CNT: 0
	.section	.text._ZN2at6native12_GLOBAL__N_145fractional_max_pool2d_backward_out_cuda_frameIfEEvN5torch10headeronly6detail27GenericPackedTensorAccessorINS5_14TensorAccessorIN3c108ArrayRefIlEET_Lm3ENS4_16DefaultPtrTraitsElEENS_6detail16IndexBoundsCheckILm4ElEESB_Lm4ESC_lEENS6_INS7_ISA_KSB_Lm3ESC_lEESG_SI_Lm4ESC_lEENS6_INS7_ISA_KlLm3ESC_lEESG_SL_Lm4ESC_lEE,"axG",@progbits,_ZN2at6native12_GLOBAL__N_145fractional_max_pool2d_backward_out_cuda_frameIfEEvN5torch10headeronly6detail27GenericPackedTensorAccessorINS5_14TensorAccessorIN3c108ArrayRefIlEET_Lm3ENS4_16DefaultPtrTraitsElEENS_6detail16IndexBoundsCheckILm4ElEESB_Lm4ESC_lEENS6_INS7_ISA_KSB_Lm3ESC_lEESG_SI_Lm4ESC_lEENS6_INS7_ISA_KlLm3ESC_lEESG_SL_Lm4ESC_lEE,comdat
	.globl	_ZN2at6native12_GLOBAL__N_145fractional_max_pool2d_backward_out_cuda_frameIfEEvN5torch10headeronly6detail27GenericPackedTensorAccessorINS5_14TensorAccessorIN3c108ArrayRefIlEET_Lm3ENS4_16DefaultPtrTraitsElEENS_6detail16IndexBoundsCheckILm4ElEESB_Lm4ESC_lEENS6_INS7_ISA_KSB_Lm3ESC_lEESG_SI_Lm4ESC_lEENS6_INS7_ISA_KlLm3ESC_lEESG_SL_Lm4ESC_lEE ; -- Begin function _ZN2at6native12_GLOBAL__N_145fractional_max_pool2d_backward_out_cuda_frameIfEEvN5torch10headeronly6detail27GenericPackedTensorAccessorINS5_14TensorAccessorIN3c108ArrayRefIlEET_Lm3ENS4_16DefaultPtrTraitsElEENS_6detail16IndexBoundsCheckILm4ElEESB_Lm4ESC_lEENS6_INS7_ISA_KSB_Lm3ESC_lEESG_SI_Lm4ESC_lEENS6_INS7_ISA_KlLm3ESC_lEESG_SL_Lm4ESC_lEE
	.p2align	8
	.type	_ZN2at6native12_GLOBAL__N_145fractional_max_pool2d_backward_out_cuda_frameIfEEvN5torch10headeronly6detail27GenericPackedTensorAccessorINS5_14TensorAccessorIN3c108ArrayRefIlEET_Lm3ENS4_16DefaultPtrTraitsElEENS_6detail16IndexBoundsCheckILm4ElEESB_Lm4ESC_lEENS6_INS7_ISA_KSB_Lm3ESC_lEESG_SI_Lm4ESC_lEENS6_INS7_ISA_KlLm3ESC_lEESG_SL_Lm4ESC_lEE,@function
_ZN2at6native12_GLOBAL__N_145fractional_max_pool2d_backward_out_cuda_frameIfEEvN5torch10headeronly6detail27GenericPackedTensorAccessorINS5_14TensorAccessorIN3c108ArrayRefIlEET_Lm3ENS4_16DefaultPtrTraitsElEENS_6detail16IndexBoundsCheckILm4ElEESB_Lm4ESC_lEENS6_INS7_ISA_KSB_Lm3ESC_lEESG_SI_Lm4ESC_lEENS6_INS7_ISA_KlLm3ESC_lEESG_SL_Lm4ESC_lEE: ; @_ZN2at6native12_GLOBAL__N_145fractional_max_pool2d_backward_out_cuda_frameIfEEvN5torch10headeronly6detail27GenericPackedTensorAccessorINS5_14TensorAccessorIN3c108ArrayRefIlEET_Lm3ENS4_16DefaultPtrTraitsElEENS_6detail16IndexBoundsCheckILm4ElEESB_Lm4ESC_lEENS6_INS7_ISA_KSB_Lm3ESC_lEESG_SI_Lm4ESC_lEENS6_INS7_ISA_KlLm3ESC_lEESG_SL_Lm4ESC_lEE
; %bb.0:
	s_load_b32 s2, s[0:1], 0xe4
	s_bfe_u32 s4, ttmp6, 0x4000c
	s_and_b32 s8, ttmp6, 15
	s_add_co_i32 s9, s4, 1
	s_getreg_b32 s3, hwreg(HW_REG_IB_STS2, 6, 4)
	s_mul_i32 s9, ttmp9, s9
	s_load_b128 s[4:7], s[0:1], 0x60
	s_add_co_i32 s8, s8, s9
	s_wait_kmcnt 0x0
	s_and_b32 s2, s2, 0xffff
	s_cmp_eq_u32 s3, 0
	s_cselect_b32 s8, ttmp9, s8
	s_delay_alu instid0(SALU_CYCLE_1) | instskip(SKIP_2) | instid1(VALU_DEP_1)
	v_mad_u32 v2, s8, s2, v0
	s_mul_u64 s[4:5], s[6:7], s[4:5]
	s_mov_b32 s2, exec_lo
	v_ashrrev_i32_e32 v3, 31, v2
	s_delay_alu instid0(VALU_DEP_1)
	v_cmpx_gt_i64_e64 s[4:5], v[2:3]
	s_cbranch_execz .LBB5_14
; %bb.1:
	v_dual_mov_b32 v4, 0 :: v_dual_bitop2_b32 v5, s7, v3 bitop3:0x54
                                        ; implicit-def: $vgpr0_vgpr1
	s_mov_b32 s2, exec_lo
	s_delay_alu instid0(VALU_DEP_1)
	v_cmpx_ne_u64_e32 0, v[4:5]
	s_xor_b32 s10, exec_lo, s2
	s_cbranch_execz .LBB5_3
; %bb.2:
	s_ashr_i32 s4, s7, 31
	s_mov_b32 s19, 0
	s_mov_b32 s5, s4
	v_dual_mov_b32 v9, v4 :: v_dual_ashrrev_i32 v0, 31, v3
	s_add_nc_u64 s[8:9], s[6:7], s[4:5]
	v_dual_mov_b32 v17, v4 :: v_dual_mov_b32 v5, v4
	s_xor_b64 s[8:9], s[8:9], s[4:5]
	s_delay_alu instid0(VALU_DEP_2) | instskip(SKIP_3) | instid1(VALU_DEP_1)
	v_mov_b32_e32 v1, v0
	s_cvt_f32_u32 s2, s8
	s_cvt_f32_u32 s5, s9
	s_sub_nc_u64 s[14:15], 0, s[8:9]
	v_add_nc_u64_e32 v[6:7], v[2:3], v[0:1]
	s_delay_alu instid0(SALU_CYCLE_1) | instskip(SKIP_1) | instid1(SALU_CYCLE_2)
	s_fmamk_f32 s2, s5, 0x4f800000, s2
	v_mov_b32_e32 v11, v4
	v_s_rcp_f32 s2, s2
	s_delay_alu instid0(VALU_DEP_2) | instskip(NEXT) | instid1(VALU_DEP_3)
	v_xor_b32_e32 v8, v6, v0
	v_xor_b32_e32 v10, v7, v0
	;; [unrolled: 1-line block ×3, first 2 shown]
	s_delay_alu instid0(TRANS32_DEP_1) | instskip(NEXT) | instid1(SALU_CYCLE_3)
	s_mul_f32 s2, s2, 0x5f7ffffc
	s_mul_f32 s5, s2, 0x2f800000
	s_delay_alu instid0(SALU_CYCLE_3) | instskip(NEXT) | instid1(SALU_CYCLE_3)
	s_trunc_f32 s5, s5
	s_fmamk_f32 s2, s5, 0xcf800000, s2
	s_cvt_u32_f32 s13, s5
	s_delay_alu instid0(SALU_CYCLE_2) | instskip(NEXT) | instid1(SALU_CYCLE_3)
	s_cvt_u32_f32 s12, s2
	s_mul_u64 s[16:17], s[14:15], s[12:13]
	s_delay_alu instid0(SALU_CYCLE_1)
	s_mul_hi_u32 s21, s12, s17
	s_mul_i32 s20, s12, s17
	s_mul_hi_u32 s18, s12, s16
	s_mul_i32 s5, s13, s16
	s_add_nc_u64 s[20:21], s[18:19], s[20:21]
	s_mul_hi_u32 s2, s13, s16
	s_mul_hi_u32 s11, s13, s17
	s_add_co_u32 s5, s20, s5
	s_add_co_ci_u32 s18, s21, s2
	s_mul_i32 s16, s13, s17
	s_add_co_ci_u32 s17, s11, 0
	s_delay_alu instid0(SALU_CYCLE_1) | instskip(NEXT) | instid1(SALU_CYCLE_1)
	s_add_nc_u64 s[16:17], s[18:19], s[16:17]
	s_add_co_u32 s12, s12, s16
	s_cselect_b32 s2, -1, 0
	s_delay_alu instid0(SALU_CYCLE_1) | instskip(SKIP_1) | instid1(SALU_CYCLE_1)
	s_cmp_lg_u32 s2, 0
	s_add_co_ci_u32 s13, s13, s17
	s_mul_u64 s[14:15], s[14:15], s[12:13]
	s_delay_alu instid0(SALU_CYCLE_1)
	s_mul_hi_u32 s17, s12, s15
	s_mul_i32 s16, s12, s15
	s_mul_hi_u32 s18, s12, s14
	s_mul_i32 s5, s13, s14
	s_add_nc_u64 s[16:17], s[18:19], s[16:17]
	s_mul_hi_u32 s2, s13, s14
	s_mul_hi_u32 s11, s13, s15
	s_add_co_u32 s5, s16, s5
	s_add_co_ci_u32 s18, s17, s2
	s_mul_i32 s14, s13, s15
	s_add_co_ci_u32 s15, s11, 0
	s_delay_alu instid0(SALU_CYCLE_1) | instskip(NEXT) | instid1(SALU_CYCLE_1)
	s_add_nc_u64 s[14:15], s[18:19], s[14:15]
	s_add_co_u32 s2, s12, s14
	s_cselect_b32 s5, -1, 0
	v_mul_hi_u32 v16, v8, s2
	s_cmp_lg_u32 s5, 0
	s_add_co_ci_u32 s18, s13, s15
	s_mov_b64 s[12:13], 0xffffffff
	v_mul_u64_e32 v[12:13], s[18:19], v[8:9]
	s_and_b64 s[12:13], s[2:3], s[12:13]
	v_mul_u64_e32 v[14:15], s[18:19], v[10:11]
	v_mul_u64_e32 v[6:7], s[12:13], v[10:11]
	s_delay_alu instid0(VALU_DEP_3) | instskip(NEXT) | instid1(VALU_DEP_1)
	v_add_nc_u64_e32 v[12:13], v[16:17], v[12:13]
	v_add_co_u32 v1, vcc_lo, v12, v6
	s_delay_alu instid0(VALU_DEP_2) | instskip(SKIP_1) | instid1(VALU_DEP_1)
	v_add_co_ci_u32_e32 v4, vcc_lo, v13, v7, vcc_lo
	v_add_co_ci_u32_e32 v15, vcc_lo, 0, v15, vcc_lo
	v_add_nc_u64_e32 v[4:5], v[4:5], v[14:15]
	s_delay_alu instid0(VALU_DEP_1) | instskip(NEXT) | instid1(VALU_DEP_1)
	v_mul_u64_e32 v[6:7], s[8:9], v[4:5]
	v_sub_nc_u32_e32 v1, v10, v7
	s_delay_alu instid0(VALU_DEP_2) | instskip(NEXT) | instid1(VALU_DEP_1)
	v_sub_co_u32 v6, vcc_lo, v8, v6
	v_sub_co_ci_u32_e64 v10, null, v10, v7, vcc_lo
	s_delay_alu instid0(VALU_DEP_3) | instskip(NEXT) | instid1(VALU_DEP_3)
	v_subrev_co_ci_u32_e64 v1, null, s9, v1, vcc_lo
	v_sub_co_u32 v8, s2, v6, s8
	s_delay_alu instid0(VALU_DEP_1) | instskip(NEXT) | instid1(VALU_DEP_2)
	v_subrev_co_ci_u32_e64 v1, null, 0, v1, s2
	v_cmp_le_u32_e32 vcc_lo, s8, v8
	v_cndmask_b32_e64 v7, 0, -1, vcc_lo
	s_delay_alu instid0(VALU_DEP_3)
	v_cmp_le_u32_e32 vcc_lo, s9, v1
	v_cndmask_b32_e64 v8, 0, -1, vcc_lo
	v_cmp_le_u32_e32 vcc_lo, s8, v6
	v_cndmask_b32_e64 v11, 0, -1, vcc_lo
	;; [unrolled: 2-line block ×3, first 2 shown]
	v_cmp_eq_u32_e32 vcc_lo, s9, v1
	v_cndmask_b32_e32 v1, v8, v7, vcc_lo
	v_cmp_eq_u32_e32 vcc_lo, s9, v10
	v_add_nc_u64_e32 v[6:7], 2, v[4:5]
	v_add_nc_u64_e32 v[8:9], 1, v[4:5]
	v_cndmask_b32_e32 v10, v12, v11, vcc_lo
	v_cmp_ne_u32_e32 vcc_lo, 0, v1
	s_delay_alu instid0(VALU_DEP_2) | instskip(NEXT) | instid1(VALU_DEP_4)
	v_cmp_ne_u32_e64 s2, 0, v10
	v_dual_cndmask_b32 v6, v8, v6 :: v_dual_cndmask_b32 v1, v9, v7
	s_delay_alu instid0(VALU_DEP_1) | instskip(SKIP_1) | instid1(VALU_DEP_2)
	v_dual_cndmask_b32 v4, v4, v6, s2 :: v_dual_cndmask_b32 v5, v5, v1, s2
	v_mov_b32_e32 v1, v0
	v_xor_b32_e32 v4, v4, v0
	s_delay_alu instid0(VALU_DEP_3) | instskip(NEXT) | instid1(VALU_DEP_1)
	v_xor_b32_e32 v5, v5, v0
	v_sub_nc_u64_e32 v[0:1], v[4:5], v[0:1]
.LBB5_3:
	s_and_not1_saveexec_b32 s2, s10
	s_cbranch_execz .LBB5_5
; %bb.4:
	v_cvt_f32_u32_e32 v0, s6
	s_sub_co_i32 s4, 0, s6
	s_delay_alu instid0(VALU_DEP_1) | instskip(SKIP_1) | instid1(TRANS32_DEP_1)
	v_rcp_iflag_f32_e32 v0, v0
	v_nop
	v_mul_f32_e32 v0, 0x4f7ffffe, v0
	s_delay_alu instid0(VALU_DEP_1) | instskip(NEXT) | instid1(VALU_DEP_1)
	v_cvt_u32_f32_e32 v0, v0
	v_mul_lo_u32 v1, s4, v0
	s_delay_alu instid0(VALU_DEP_1) | instskip(NEXT) | instid1(VALU_DEP_1)
	v_mul_hi_u32 v1, v0, v1
	v_add_nc_u32_e32 v0, v0, v1
	s_delay_alu instid0(VALU_DEP_1) | instskip(NEXT) | instid1(VALU_DEP_1)
	v_mul_hi_u32 v0, v2, v0
	v_mul_lo_u32 v1, v0, s6
	s_delay_alu instid0(VALU_DEP_1) | instskip(NEXT) | instid1(VALU_DEP_1)
	v_sub_nc_u32_e32 v1, v2, v1
	v_subrev_nc_u32_e32 v5, s6, v1
	v_cmp_le_u32_e32 vcc_lo, s6, v1
	s_delay_alu instid0(VALU_DEP_2) | instskip(NEXT) | instid1(VALU_DEP_1)
	v_dual_cndmask_b32 v1, v1, v5 :: v_dual_add_nc_u32 v4, 1, v0
	v_cndmask_b32_e32 v0, v0, v4, vcc_lo
	s_delay_alu instid0(VALU_DEP_2) | instskip(NEXT) | instid1(VALU_DEP_2)
	v_cmp_le_u32_e32 vcc_lo, s6, v1
	v_dual_mov_b32 v1, 0 :: v_dual_add_nc_u32 v4, 1, v0
	s_delay_alu instid0(VALU_DEP_1)
	v_cndmask_b32_e32 v0, v0, v4, vcc_lo
.LBB5_5:
	s_or_b32 exec_lo, exec_lo, s2
	s_delay_alu instid0(VALU_DEP_1)
	v_mul_u64_e32 v[4:5], s[6:7], v[0:1]
	s_load_b256 s[8:15], s[0:1], 0xb8
	v_ashrrev_i32_e32 v1, 31, v0
	s_bfe_u32 s2, ttmp6, 0x40010
	s_bfe_u32 s4, ttmp6, 0x40014
	s_and_b32 s6, ttmp7, 0xffff
	s_add_co_i32 s2, s2, 1
	s_lshr_b32 s7, ttmp7, 16
	s_add_co_i32 s4, s4, 1
	s_mul_i32 s2, s6, s2
	s_bfe_u32 s5, ttmp6, 0x40004
	s_mul_i32 s4, s7, s4
	s_delay_alu instid0(VALU_DEP_2) | instskip(SKIP_3) | instid1(VALU_DEP_2)
	v_sub_nc_u64_e32 v[2:3], v[2:3], v[4:5]
	s_wait_kmcnt 0x0
	v_mul_u64_e32 v[4:5], s[12:13], v[0:1]
	s_load_b64 s[12:13], s[0:1], 0x90
	v_mul_u64_e32 v[6:7], s[14:15], v[2:3]
	s_bfe_u32 s14, ttmp6, 0x40008
	s_add_co_i32 s15, s5, s2
	s_add_co_i32 s14, s14, s4
	s_cmp_eq_u32 s3, 0
	s_mov_b32 s5, 0
	s_cselect_b32 s4, s7, s14
	s_cselect_b32 s6, s6, s15
	s_mul_u64 s[2:3], s[8:9], s[4:5]
	s_mov_b32 s7, s5
	s_lshl_b64 s[2:3], s[2:3], 3
	s_mul_u64 s[8:9], s[10:11], s[6:7]
	s_mov_b32 s14, s5
	s_lshl_b64 s[8:9], s[8:9], 3
	s_wait_kmcnt 0x0
	s_add_nc_u64 s[2:3], s[12:13], s[2:3]
	s_delay_alu instid0(SALU_CYCLE_1)
	s_add_nc_u64 s[2:3], s[2:3], s[8:9]
	s_delay_alu instid0(VALU_DEP_2) | instid1(SALU_CYCLE_1)
	v_lshl_add_u64 v[4:5], v[4:5], 3, s[2:3]
	s_mov_b32 s2, exec_lo
	s_delay_alu instid0(VALU_DEP_1) | instskip(SKIP_3) | instid1(VALU_DEP_1)
	v_lshl_add_u64 v[4:5], v[6:7], 3, v[4:5]
	global_load_b64 v[10:11], v[4:5], off
	s_wait_loadcnt 0x0
	v_and_b32_e32 v4, 0x80000000, v10
	v_cmpx_ne_u32_e32 0, v4
	s_xor_b32 s2, exec_lo, s2
	s_cbranch_execnz .LBB5_16
; %bb.6:
	s_or_saveexec_b32 s15, s2
	s_mov_b32 s2, s5
                                        ; implicit-def: $vgpr6_vgpr7
                                        ; implicit-def: $vgpr8_vgpr9
                                        ; implicit-def: $vgpr4_vgpr5
	s_xor_b32 exec_lo, exec_lo, s15
	s_cbranch_execz .LBB5_17
.LBB5_7:
	s_load_b64 s[8:9], s[0:1], 0x20
	v_and_b32_e32 v4, 0x7fffffff, v10
	v_mov_b32_e32 v5, 0
	s_wait_kmcnt 0x0
	s_and_b64 s[2:3], s[8:9], 0xffffffff00000000
	s_delay_alu instid0(SALU_CYCLE_1)
	s_cmp_lg_u64 s[2:3], 0
	s_cbranch_scc0 .LBB5_15
; %bb.8:
	s_ashr_i32 s10, s9, 31
	v_add_nc_u64_e32 v[6:7], 0, v[4:5]
	s_mov_b32 s11, s10
	v_mov_b32_e32 v9, v5
	s_add_nc_u64 s[2:3], s[8:9], s[10:11]
	v_mov_b32_e32 v11, v5
	s_xor_b64 s[12:13], s[2:3], s[10:11]
	v_mov_b32_e32 v15, v5
	s_cvt_f32_u32 s2, s12
	s_cvt_f32_u32 s3, s13
	s_sub_nc_u64 s[18:19], 0, s[12:13]
	v_dual_mov_b32 v8, v6 :: v_dual_mov_b32 v10, v7
	s_delay_alu instid0(SALU_CYCLE_1) | instskip(NEXT) | instid1(SALU_CYCLE_3)
	s_fmamk_f32 s2, s3, 0x4f800000, s2
	v_s_rcp_f32 s2, s2
	s_delay_alu instid0(TRANS32_DEP_1) | instskip(NEXT) | instid1(SALU_CYCLE_3)
	s_mul_f32 s2, s2, 0x5f7ffffc
	s_mul_f32 s3, s2, 0x2f800000
	s_delay_alu instid0(SALU_CYCLE_3) | instskip(NEXT) | instid1(SALU_CYCLE_3)
	s_trunc_f32 s3, s3
	s_fmamk_f32 s2, s3, 0xcf800000, s2
	s_cvt_u32_f32 s17, s3
	s_mov_b32 s3, 0
	s_delay_alu instid0(SALU_CYCLE_1) | instskip(NEXT) | instid1(SALU_CYCLE_3)
	s_cvt_u32_f32 s16, s2
	s_mul_u64 s[20:21], s[18:19], s[16:17]
	s_delay_alu instid0(SALU_CYCLE_1)
	s_mul_hi_u32 s23, s16, s21
	s_mul_i32 s22, s16, s21
	s_mul_hi_u32 s2, s16, s20
	s_mul_i32 s24, s17, s20
	s_add_nc_u64 s[22:23], s[2:3], s[22:23]
	s_mul_hi_u32 s11, s17, s20
	s_mul_hi_u32 s25, s17, s21
	s_add_co_u32 s2, s22, s24
	s_add_co_ci_u32 s2, s23, s11
	s_mul_i32 s20, s17, s21
	s_add_co_ci_u32 s21, s25, 0
	s_delay_alu instid0(SALU_CYCLE_1) | instskip(NEXT) | instid1(SALU_CYCLE_1)
	s_add_nc_u64 s[20:21], s[2:3], s[20:21]
	s_add_co_u32 s16, s16, s20
	s_cselect_b32 s2, -1, 0
	s_delay_alu instid0(SALU_CYCLE_1) | instskip(SKIP_1) | instid1(SALU_CYCLE_1)
	s_cmp_lg_u32 s2, 0
	s_add_co_ci_u32 s17, s17, s21
	s_mul_u64 s[18:19], s[18:19], s[16:17]
	s_delay_alu instid0(SALU_CYCLE_1)
	s_mul_hi_u32 s21, s16, s19
	s_mul_i32 s20, s16, s19
	s_mul_hi_u32 s2, s16, s18
	s_mul_i32 s22, s17, s18
	s_add_nc_u64 s[20:21], s[2:3], s[20:21]
	s_mul_hi_u32 s11, s17, s18
	s_mul_hi_u32 s23, s17, s19
	s_add_co_u32 s2, s20, s22
	s_add_co_ci_u32 s2, s21, s11
	s_mul_i32 s18, s17, s19
	s_add_co_ci_u32 s19, s23, 0
	s_delay_alu instid0(SALU_CYCLE_1) | instskip(NEXT) | instid1(SALU_CYCLE_1)
	s_add_nc_u64 s[18:19], s[2:3], s[18:19]
	s_add_co_u32 s16, s16, s18
	s_cselect_b32 s2, -1, 0
	v_mul_hi_u32 v14, v6, s16
	s_cmp_lg_u32 s2, 0
	s_add_co_ci_u32 s2, s17, s19
	s_mov_b64 s[18:19], 0xffffffff
	v_mul_u64_e32 v[8:9], s[2:3], v[8:9]
	s_and_b64 s[18:19], s[16:17], s[18:19]
	s_delay_alu instid0(SALU_CYCLE_1) | instskip(SKIP_1) | instid1(VALU_DEP_3)
	v_mul_u64_e32 v[12:13], s[18:19], v[10:11]
	v_mul_u64_e32 v[10:11], s[2:3], v[10:11]
	v_add_nc_u64_e32 v[8:9], v[14:15], v[8:9]
	s_delay_alu instid0(VALU_DEP_1) | instskip(NEXT) | instid1(VALU_DEP_2)
	v_add_co_u32 v8, vcc_lo, v8, v12
	v_add_co_ci_u32_e32 v14, vcc_lo, v9, v13, vcc_lo
	s_delay_alu instid0(VALU_DEP_4) | instskip(NEXT) | instid1(VALU_DEP_1)
	v_add_co_ci_u32_e32 v11, vcc_lo, 0, v11, vcc_lo
	v_add_nc_u64_e32 v[8:9], v[14:15], v[10:11]
	s_delay_alu instid0(VALU_DEP_1) | instskip(NEXT) | instid1(VALU_DEP_1)
	v_mul_u64_e32 v[10:11], s[12:13], v[8:9]
	v_sub_nc_u32_e32 v12, v7, v11
	s_delay_alu instid0(VALU_DEP_2) | instskip(NEXT) | instid1(VALU_DEP_1)
	v_sub_co_u32 v6, vcc_lo, v6, v10
	v_sub_co_ci_u32_e64 v11, null, v7, v11, vcc_lo
	s_delay_alu instid0(VALU_DEP_3) | instskip(NEXT) | instid1(VALU_DEP_3)
	v_subrev_co_ci_u32_e64 v10, null, s13, v12, vcc_lo
	v_sub_co_u32 v14, s2, v6, s12
	v_cmp_le_u32_e32 vcc_lo, s12, v6
	s_delay_alu instid0(VALU_DEP_3) | instskip(NEXT) | instid1(VALU_DEP_3)
	v_subrev_co_ci_u32_e64 v10, null, 0, v10, s2
	v_cmp_le_u32_e64 s2, s12, v14
	v_add_nc_u64_e32 v[12:13], 2, v[8:9]
	v_cndmask_b32_e64 v16, 0, -1, vcc_lo
	s_delay_alu instid0(VALU_DEP_4) | instskip(SKIP_3) | instid1(VALU_DEP_1)
	v_cmp_eq_u32_e32 vcc_lo, s13, v10
	v_add_nc_u64_e32 v[6:7], 1, v[8:9]
	v_cndmask_b32_e64 v14, 0, -1, s2
	v_cmp_le_u32_e64 s2, s13, v10
	v_cndmask_b32_e64 v15, 0, -1, s2
	v_cmp_eq_u32_e64 s2, s13, v11
	s_delay_alu instid0(VALU_DEP_2) | instskip(SKIP_2) | instid1(VALU_DEP_3)
	v_cndmask_b32_e32 v10, v15, v14, vcc_lo
	v_cmp_le_u32_e32 vcc_lo, s13, v11
	v_cndmask_b32_e64 v14, 0, -1, vcc_lo
	v_cmp_ne_u32_e32 vcc_lo, 0, v10
	s_delay_alu instid0(VALU_DEP_2) | instskip(SKIP_1) | instid1(VALU_DEP_2)
	v_dual_cndmask_b32 v10, v14, v16, s2 :: v_dual_cndmask_b32 v7, v7, v13, vcc_lo
	v_cndmask_b32_e32 v6, v6, v12, vcc_lo
	v_cmp_ne_u32_e32 vcc_lo, 0, v10
	s_delay_alu instid0(VALU_DEP_2) | instskip(SKIP_1) | instid1(VALU_DEP_2)
	v_dual_cndmask_b32 v9, v9, v7 :: v_dual_cndmask_b32 v8, v8, v6
	v_dual_mov_b32 v7, s10 :: v_dual_mov_b32 v6, s10
	v_xor_b32_e32 v9, s10, v9
	s_delay_alu instid0(VALU_DEP_3) | instskip(NEXT) | instid1(VALU_DEP_1)
	v_xor_b32_e32 v8, s10, v8
	v_sub_nc_u64_e32 v[6:7], v[8:9], v[6:7]
	s_cbranch_execnz .LBB5_10
.LBB5_9:
	v_cvt_f32_u32_e32 v6, s8
	s_sub_co_i32 s2, 0, s8
	s_delay_alu instid0(VALU_DEP_1) | instskip(SKIP_1) | instid1(TRANS32_DEP_1)
	v_rcp_iflag_f32_e32 v6, v6
	v_nop
	v_mul_f32_e32 v6, 0x4f7ffffe, v6
	s_delay_alu instid0(VALU_DEP_1) | instskip(NEXT) | instid1(VALU_DEP_1)
	v_cvt_u32_f32_e32 v6, v6
	v_mul_lo_u32 v7, s2, v6
	s_delay_alu instid0(VALU_DEP_1) | instskip(NEXT) | instid1(VALU_DEP_1)
	v_mul_hi_u32 v7, v6, v7
	v_add_nc_u32_e32 v6, v6, v7
	s_delay_alu instid0(VALU_DEP_1) | instskip(NEXT) | instid1(VALU_DEP_1)
	v_mul_hi_u32 v6, v4, v6
	v_mul_lo_u32 v7, v6, s8
	s_delay_alu instid0(VALU_DEP_1) | instskip(NEXT) | instid1(VALU_DEP_1)
	v_dual_add_nc_u32 v8, 1, v6 :: v_dual_sub_nc_u32 v7, v4, v7
	v_subrev_nc_u32_e32 v9, s8, v7
	v_cmp_le_u32_e32 vcc_lo, s8, v7
	s_delay_alu instid0(VALU_DEP_2) | instskip(NEXT) | instid1(VALU_DEP_1)
	v_dual_cndmask_b32 v7, v7, v9 :: v_dual_cndmask_b32 v6, v6, v8
	v_cmp_le_u32_e32 vcc_lo, s8, v7
	s_delay_alu instid0(VALU_DEP_2) | instskip(NEXT) | instid1(VALU_DEP_1)
	v_dual_mov_b32 v7, 0 :: v_dual_add_nc_u32 v8, 1, v6
	v_cndmask_b32_e32 v6, v6, v8, vcc_lo
.LBB5_10:
	s_load_b64 s[2:3], s[0:1], 0x18
	s_wait_kmcnt 0x0
	s_delay_alu instid0(VALU_DEP_1)
	v_cmp_le_i64_e32 vcc_lo, s[2:3], v[6:7]
	s_mov_b32 s2, -1
	s_mov_b32 s3, s14
	s_and_saveexec_b32 s10, vcc_lo
	s_cbranch_execnz .LBB5_19
.LBB5_11:
	s_or_b32 exec_lo, exec_lo, s10
	v_mov_b64_e32 v[8:9], s[8:9]
	s_and_not1_b32 s8, s14, exec_lo
	s_and_b32 s3, s3, exec_lo
	s_and_b32 s2, s2, exec_lo
	s_or_b32 s14, s8, s3
	s_or_b32 exec_lo, exec_lo, s15
	s_and_saveexec_b32 s3, s14
	s_cbranch_execnz .LBB5_18
.LBB5_12:
	s_or_b32 exec_lo, exec_lo, s3
	s_delay_alu instid0(SALU_CYCLE_1)
	s_and_b32 exec_lo, exec_lo, s2
	s_cbranch_execz .LBB5_14
.LBB5_13:
	s_clause 0x1
	s_load_b256 s[8:15], s[0:1], 0x70
	s_load_b64 s[2:3], s[0:1], 0x48
	s_wait_kmcnt 0x0
	v_mul_u64_e32 v[0:1], s[12:13], v[0:1]
	v_mul_u64_e32 v[2:3], s[14:15], v[2:3]
	s_mul_u64 s[8:9], s[8:9], s[4:5]
	s_mul_u64 s[10:11], s[10:11], s[6:7]
	s_lshl_b64 s[8:9], s[8:9], 2
	s_delay_alu instid0(SALU_CYCLE_1) | instskip(SKIP_1) | instid1(SALU_CYCLE_1)
	s_add_nc_u64 s[2:3], s[2:3], s[8:9]
	s_lshl_b64 s[8:9], s[10:11], 2
	s_add_nc_u64 s[2:3], s[2:3], s[8:9]
	s_load_b256 s[8:15], s[0:1], 0x28
	s_delay_alu instid0(VALU_DEP_2)
	v_lshl_add_u64 v[0:1], v[0:1], 2, s[2:3]
	s_wait_xcnt 0x0
	s_load_b64 s[0:1], s[0:1], 0x0
	s_wait_kmcnt 0x0
	s_mul_u64 s[2:3], s[8:9], s[4:5]
	s_mul_u64 s[4:5], s[10:11], s[6:7]
	s_lshl_b64 s[2:3], s[2:3], 2
	s_delay_alu instid0(VALU_DEP_2)
	v_lshl_add_u64 v[0:1], v[2:3], 2, v[0:1]
	v_mul_u64_e32 v[2:3], s[12:13], v[6:7]
	global_load_b32 v10, v[0:1], off
	s_wait_xcnt 0x0
	v_mul_u64_e32 v[0:1], v[6:7], v[8:9]
	s_add_nc_u64 s[0:1], s[0:1], s[2:3]
	s_lshl_b64 s[2:3], s[4:5], 2
	s_delay_alu instid0(SALU_CYCLE_1) | instskip(NEXT) | instid1(SALU_CYCLE_1)
	s_add_nc_u64 s[0:1], s[0:1], s[2:3]
	v_lshl_add_u64 v[2:3], v[2:3], 2, s[0:1]
	s_delay_alu instid0(VALU_DEP_2) | instskip(NEXT) | instid1(VALU_DEP_1)
	v_sub_nc_u64_e32 v[0:1], v[4:5], v[0:1]
	v_mul_u64_e32 v[0:1], s[14:15], v[0:1]
	s_delay_alu instid0(VALU_DEP_1)
	v_lshl_add_u64 v[0:1], v[0:1], 2, v[2:3]
	s_wait_loadcnt 0x0
	global_atomic_add_f32 v[0:1], v10, off scope:SCOPE_DEV
.LBB5_14:
	s_endpgm
.LBB5_15:
                                        ; implicit-def: $vgpr6_vgpr7
	s_branch .LBB5_9
.LBB5_16:
	s_mov_b32 s14, exec_lo
	s_trap 2
                                        ; implicit-def: $vgpr10_vgpr11
	s_or_saveexec_b32 s15, s2
	s_mov_b32 s2, s5
                                        ; implicit-def: $vgpr6_vgpr7
                                        ; implicit-def: $vgpr8_vgpr9
                                        ; implicit-def: $vgpr4_vgpr5
	s_xor_b32 exec_lo, exec_lo, s15
	s_cbranch_execnz .LBB5_7
.LBB5_17:
	s_or_b32 exec_lo, exec_lo, s15
	s_and_saveexec_b32 s3, s14
	s_cbranch_execz .LBB5_12
.LBB5_18:
	; divergent unreachable
	s_or_b32 exec_lo, exec_lo, s3
	s_delay_alu instid0(SALU_CYCLE_1)
	s_and_b32 exec_lo, exec_lo, s2
	s_cbranch_execnz .LBB5_13
	s_branch .LBB5_14
.LBB5_19:
	s_xor_b32 s2, exec_lo, -1
	s_or_b32 s3, s14, exec_lo
	s_trap 2
	s_branch .LBB5_11
	.section	.rodata,"a",@progbits
	.p2align	6, 0x0
	.amdhsa_kernel _ZN2at6native12_GLOBAL__N_145fractional_max_pool2d_backward_out_cuda_frameIfEEvN5torch10headeronly6detail27GenericPackedTensorAccessorINS5_14TensorAccessorIN3c108ArrayRefIlEET_Lm3ENS4_16DefaultPtrTraitsElEENS_6detail16IndexBoundsCheckILm4ElEESB_Lm4ESC_lEENS6_INS7_ISA_KSB_Lm3ESC_lEESG_SI_Lm4ESC_lEENS6_INS7_ISA_KlLm3ESC_lEESG_SL_Lm4ESC_lEE
		.amdhsa_group_segment_fixed_size 0
		.amdhsa_private_segment_fixed_size 0
		.amdhsa_kernarg_size 472
		.amdhsa_user_sgpr_count 2
		.amdhsa_user_sgpr_dispatch_ptr 0
		.amdhsa_user_sgpr_queue_ptr 0
		.amdhsa_user_sgpr_kernarg_segment_ptr 1
		.amdhsa_user_sgpr_dispatch_id 0
		.amdhsa_user_sgpr_kernarg_preload_length 0
		.amdhsa_user_sgpr_kernarg_preload_offset 0
		.amdhsa_user_sgpr_private_segment_size 0
		.amdhsa_wavefront_size32 1
		.amdhsa_uses_dynamic_stack 0
		.amdhsa_enable_private_segment 0
		.amdhsa_system_sgpr_workgroup_id_x 1
		.amdhsa_system_sgpr_workgroup_id_y 1
		.amdhsa_system_sgpr_workgroup_id_z 1
		.amdhsa_system_sgpr_workgroup_info 0
		.amdhsa_system_vgpr_workitem_id 0
		.amdhsa_next_free_vgpr 18
		.amdhsa_next_free_sgpr 26
		.amdhsa_named_barrier_count 0
		.amdhsa_reserve_vcc 1
		.amdhsa_float_round_mode_32 0
		.amdhsa_float_round_mode_16_64 0
		.amdhsa_float_denorm_mode_32 3
		.amdhsa_float_denorm_mode_16_64 3
		.amdhsa_fp16_overflow 0
		.amdhsa_memory_ordered 1
		.amdhsa_forward_progress 1
		.amdhsa_inst_pref_size 18
		.amdhsa_round_robin_scheduling 0
		.amdhsa_exception_fp_ieee_invalid_op 0
		.amdhsa_exception_fp_denorm_src 0
		.amdhsa_exception_fp_ieee_div_zero 0
		.amdhsa_exception_fp_ieee_overflow 0
		.amdhsa_exception_fp_ieee_underflow 0
		.amdhsa_exception_fp_ieee_inexact 0
		.amdhsa_exception_int_div_zero 0
	.end_amdhsa_kernel
	.section	.text._ZN2at6native12_GLOBAL__N_145fractional_max_pool2d_backward_out_cuda_frameIfEEvN5torch10headeronly6detail27GenericPackedTensorAccessorINS5_14TensorAccessorIN3c108ArrayRefIlEET_Lm3ENS4_16DefaultPtrTraitsElEENS_6detail16IndexBoundsCheckILm4ElEESB_Lm4ESC_lEENS6_INS7_ISA_KSB_Lm3ESC_lEESG_SI_Lm4ESC_lEENS6_INS7_ISA_KlLm3ESC_lEESG_SL_Lm4ESC_lEE,"axG",@progbits,_ZN2at6native12_GLOBAL__N_145fractional_max_pool2d_backward_out_cuda_frameIfEEvN5torch10headeronly6detail27GenericPackedTensorAccessorINS5_14TensorAccessorIN3c108ArrayRefIlEET_Lm3ENS4_16DefaultPtrTraitsElEENS_6detail16IndexBoundsCheckILm4ElEESB_Lm4ESC_lEENS6_INS7_ISA_KSB_Lm3ESC_lEESG_SI_Lm4ESC_lEENS6_INS7_ISA_KlLm3ESC_lEESG_SL_Lm4ESC_lEE,comdat
.Lfunc_end5:
	.size	_ZN2at6native12_GLOBAL__N_145fractional_max_pool2d_backward_out_cuda_frameIfEEvN5torch10headeronly6detail27GenericPackedTensorAccessorINS5_14TensorAccessorIN3c108ArrayRefIlEET_Lm3ENS4_16DefaultPtrTraitsElEENS_6detail16IndexBoundsCheckILm4ElEESB_Lm4ESC_lEENS6_INS7_ISA_KSB_Lm3ESC_lEESG_SI_Lm4ESC_lEENS6_INS7_ISA_KlLm3ESC_lEESG_SL_Lm4ESC_lEE, .Lfunc_end5-_ZN2at6native12_GLOBAL__N_145fractional_max_pool2d_backward_out_cuda_frameIfEEvN5torch10headeronly6detail27GenericPackedTensorAccessorINS5_14TensorAccessorIN3c108ArrayRefIlEET_Lm3ENS4_16DefaultPtrTraitsElEENS_6detail16IndexBoundsCheckILm4ElEESB_Lm4ESC_lEENS6_INS7_ISA_KSB_Lm3ESC_lEESG_SI_Lm4ESC_lEENS6_INS7_ISA_KlLm3ESC_lEESG_SL_Lm4ESC_lEE
                                        ; -- End function
	.set _ZN2at6native12_GLOBAL__N_145fractional_max_pool2d_backward_out_cuda_frameIfEEvN5torch10headeronly6detail27GenericPackedTensorAccessorINS5_14TensorAccessorIN3c108ArrayRefIlEET_Lm3ENS4_16DefaultPtrTraitsElEENS_6detail16IndexBoundsCheckILm4ElEESB_Lm4ESC_lEENS6_INS7_ISA_KSB_Lm3ESC_lEESG_SI_Lm4ESC_lEENS6_INS7_ISA_KlLm3ESC_lEESG_SL_Lm4ESC_lEE.num_vgpr, 18
	.set _ZN2at6native12_GLOBAL__N_145fractional_max_pool2d_backward_out_cuda_frameIfEEvN5torch10headeronly6detail27GenericPackedTensorAccessorINS5_14TensorAccessorIN3c108ArrayRefIlEET_Lm3ENS4_16DefaultPtrTraitsElEENS_6detail16IndexBoundsCheckILm4ElEESB_Lm4ESC_lEENS6_INS7_ISA_KSB_Lm3ESC_lEESG_SI_Lm4ESC_lEENS6_INS7_ISA_KlLm3ESC_lEESG_SL_Lm4ESC_lEE.num_agpr, 0
	.set _ZN2at6native12_GLOBAL__N_145fractional_max_pool2d_backward_out_cuda_frameIfEEvN5torch10headeronly6detail27GenericPackedTensorAccessorINS5_14TensorAccessorIN3c108ArrayRefIlEET_Lm3ENS4_16DefaultPtrTraitsElEENS_6detail16IndexBoundsCheckILm4ElEESB_Lm4ESC_lEENS6_INS7_ISA_KSB_Lm3ESC_lEESG_SI_Lm4ESC_lEENS6_INS7_ISA_KlLm3ESC_lEESG_SL_Lm4ESC_lEE.numbered_sgpr, 26
	.set _ZN2at6native12_GLOBAL__N_145fractional_max_pool2d_backward_out_cuda_frameIfEEvN5torch10headeronly6detail27GenericPackedTensorAccessorINS5_14TensorAccessorIN3c108ArrayRefIlEET_Lm3ENS4_16DefaultPtrTraitsElEENS_6detail16IndexBoundsCheckILm4ElEESB_Lm4ESC_lEENS6_INS7_ISA_KSB_Lm3ESC_lEESG_SI_Lm4ESC_lEENS6_INS7_ISA_KlLm3ESC_lEESG_SL_Lm4ESC_lEE.num_named_barrier, 0
	.set _ZN2at6native12_GLOBAL__N_145fractional_max_pool2d_backward_out_cuda_frameIfEEvN5torch10headeronly6detail27GenericPackedTensorAccessorINS5_14TensorAccessorIN3c108ArrayRefIlEET_Lm3ENS4_16DefaultPtrTraitsElEENS_6detail16IndexBoundsCheckILm4ElEESB_Lm4ESC_lEENS6_INS7_ISA_KSB_Lm3ESC_lEESG_SI_Lm4ESC_lEENS6_INS7_ISA_KlLm3ESC_lEESG_SL_Lm4ESC_lEE.private_seg_size, 0
	.set _ZN2at6native12_GLOBAL__N_145fractional_max_pool2d_backward_out_cuda_frameIfEEvN5torch10headeronly6detail27GenericPackedTensorAccessorINS5_14TensorAccessorIN3c108ArrayRefIlEET_Lm3ENS4_16DefaultPtrTraitsElEENS_6detail16IndexBoundsCheckILm4ElEESB_Lm4ESC_lEENS6_INS7_ISA_KSB_Lm3ESC_lEESG_SI_Lm4ESC_lEENS6_INS7_ISA_KlLm3ESC_lEESG_SL_Lm4ESC_lEE.uses_vcc, 1
	.set _ZN2at6native12_GLOBAL__N_145fractional_max_pool2d_backward_out_cuda_frameIfEEvN5torch10headeronly6detail27GenericPackedTensorAccessorINS5_14TensorAccessorIN3c108ArrayRefIlEET_Lm3ENS4_16DefaultPtrTraitsElEENS_6detail16IndexBoundsCheckILm4ElEESB_Lm4ESC_lEENS6_INS7_ISA_KSB_Lm3ESC_lEESG_SI_Lm4ESC_lEENS6_INS7_ISA_KlLm3ESC_lEESG_SL_Lm4ESC_lEE.uses_flat_scratch, 0
	.set _ZN2at6native12_GLOBAL__N_145fractional_max_pool2d_backward_out_cuda_frameIfEEvN5torch10headeronly6detail27GenericPackedTensorAccessorINS5_14TensorAccessorIN3c108ArrayRefIlEET_Lm3ENS4_16DefaultPtrTraitsElEENS_6detail16IndexBoundsCheckILm4ElEESB_Lm4ESC_lEENS6_INS7_ISA_KSB_Lm3ESC_lEESG_SI_Lm4ESC_lEENS6_INS7_ISA_KlLm3ESC_lEESG_SL_Lm4ESC_lEE.has_dyn_sized_stack, 0
	.set _ZN2at6native12_GLOBAL__N_145fractional_max_pool2d_backward_out_cuda_frameIfEEvN5torch10headeronly6detail27GenericPackedTensorAccessorINS5_14TensorAccessorIN3c108ArrayRefIlEET_Lm3ENS4_16DefaultPtrTraitsElEENS_6detail16IndexBoundsCheckILm4ElEESB_Lm4ESC_lEENS6_INS7_ISA_KSB_Lm3ESC_lEESG_SI_Lm4ESC_lEENS6_INS7_ISA_KlLm3ESC_lEESG_SL_Lm4ESC_lEE.has_recursion, 0
	.set _ZN2at6native12_GLOBAL__N_145fractional_max_pool2d_backward_out_cuda_frameIfEEvN5torch10headeronly6detail27GenericPackedTensorAccessorINS5_14TensorAccessorIN3c108ArrayRefIlEET_Lm3ENS4_16DefaultPtrTraitsElEENS_6detail16IndexBoundsCheckILm4ElEESB_Lm4ESC_lEENS6_INS7_ISA_KSB_Lm3ESC_lEESG_SI_Lm4ESC_lEENS6_INS7_ISA_KlLm3ESC_lEESG_SL_Lm4ESC_lEE.has_indirect_call, 0
	.section	.AMDGPU.csdata,"",@progbits
; Kernel info:
; codeLenInByte = 2240
; TotalNumSgprs: 28
; NumVgprs: 18
; ScratchSize: 0
; MemoryBound: 0
; FloatMode: 240
; IeeeMode: 1
; LDSByteSize: 0 bytes/workgroup (compile time only)
; SGPRBlocks: 0
; VGPRBlocks: 1
; NumSGPRsForWavesPerEU: 28
; NumVGPRsForWavesPerEU: 18
; NamedBarCnt: 0
; Occupancy: 16
; WaveLimiterHint : 1
; COMPUTE_PGM_RSRC2:SCRATCH_EN: 0
; COMPUTE_PGM_RSRC2:USER_SGPR: 2
; COMPUTE_PGM_RSRC2:TRAP_HANDLER: 0
; COMPUTE_PGM_RSRC2:TGID_X_EN: 1
; COMPUTE_PGM_RSRC2:TGID_Y_EN: 1
; COMPUTE_PGM_RSRC2:TGID_Z_EN: 1
; COMPUTE_PGM_RSRC2:TIDIG_COMP_CNT: 0
	.section	.text._ZN2at6native12_GLOBAL__N_145fractional_max_pool2d_backward_out_cuda_frameIN3c104HalfEEEvN5torch10headeronly6detail27GenericPackedTensorAccessorINS7_14TensorAccessorINS3_8ArrayRefIlEET_Lm3ENS6_16DefaultPtrTraitsElEENS_6detail16IndexBoundsCheckILm4ElEESC_Lm4ESD_lEENS8_INS9_ISB_KSC_Lm3ESD_lEESH_SJ_Lm4ESD_lEENS8_INS9_ISB_KlLm3ESD_lEESH_SM_Lm4ESD_lEE,"axG",@progbits,_ZN2at6native12_GLOBAL__N_145fractional_max_pool2d_backward_out_cuda_frameIN3c104HalfEEEvN5torch10headeronly6detail27GenericPackedTensorAccessorINS7_14TensorAccessorINS3_8ArrayRefIlEET_Lm3ENS6_16DefaultPtrTraitsElEENS_6detail16IndexBoundsCheckILm4ElEESC_Lm4ESD_lEENS8_INS9_ISB_KSC_Lm3ESD_lEESH_SJ_Lm4ESD_lEENS8_INS9_ISB_KlLm3ESD_lEESH_SM_Lm4ESD_lEE,comdat
	.globl	_ZN2at6native12_GLOBAL__N_145fractional_max_pool2d_backward_out_cuda_frameIN3c104HalfEEEvN5torch10headeronly6detail27GenericPackedTensorAccessorINS7_14TensorAccessorINS3_8ArrayRefIlEET_Lm3ENS6_16DefaultPtrTraitsElEENS_6detail16IndexBoundsCheckILm4ElEESC_Lm4ESD_lEENS8_INS9_ISB_KSC_Lm3ESD_lEESH_SJ_Lm4ESD_lEENS8_INS9_ISB_KlLm3ESD_lEESH_SM_Lm4ESD_lEE ; -- Begin function _ZN2at6native12_GLOBAL__N_145fractional_max_pool2d_backward_out_cuda_frameIN3c104HalfEEEvN5torch10headeronly6detail27GenericPackedTensorAccessorINS7_14TensorAccessorINS3_8ArrayRefIlEET_Lm3ENS6_16DefaultPtrTraitsElEENS_6detail16IndexBoundsCheckILm4ElEESC_Lm4ESD_lEENS8_INS9_ISB_KSC_Lm3ESD_lEESH_SJ_Lm4ESD_lEENS8_INS9_ISB_KlLm3ESD_lEESH_SM_Lm4ESD_lEE
	.p2align	8
	.type	_ZN2at6native12_GLOBAL__N_145fractional_max_pool2d_backward_out_cuda_frameIN3c104HalfEEEvN5torch10headeronly6detail27GenericPackedTensorAccessorINS7_14TensorAccessorINS3_8ArrayRefIlEET_Lm3ENS6_16DefaultPtrTraitsElEENS_6detail16IndexBoundsCheckILm4ElEESC_Lm4ESD_lEENS8_INS9_ISB_KSC_Lm3ESD_lEESH_SJ_Lm4ESD_lEENS8_INS9_ISB_KlLm3ESD_lEESH_SM_Lm4ESD_lEE,@function
_ZN2at6native12_GLOBAL__N_145fractional_max_pool2d_backward_out_cuda_frameIN3c104HalfEEEvN5torch10headeronly6detail27GenericPackedTensorAccessorINS7_14TensorAccessorINS3_8ArrayRefIlEET_Lm3ENS6_16DefaultPtrTraitsElEENS_6detail16IndexBoundsCheckILm4ElEESC_Lm4ESD_lEENS8_INS9_ISB_KSC_Lm3ESD_lEESH_SJ_Lm4ESD_lEENS8_INS9_ISB_KlLm3ESD_lEESH_SM_Lm4ESD_lEE: ; @_ZN2at6native12_GLOBAL__N_145fractional_max_pool2d_backward_out_cuda_frameIN3c104HalfEEEvN5torch10headeronly6detail27GenericPackedTensorAccessorINS7_14TensorAccessorINS3_8ArrayRefIlEET_Lm3ENS6_16DefaultPtrTraitsElEENS_6detail16IndexBoundsCheckILm4ElEESC_Lm4ESD_lEENS8_INS9_ISB_KSC_Lm3ESD_lEESH_SJ_Lm4ESD_lEENS8_INS9_ISB_KlLm3ESD_lEESH_SM_Lm4ESD_lEE
; %bb.0:
	s_load_b32 s2, s[0:1], 0xe4
	s_bfe_u32 s4, ttmp6, 0x4000c
	s_and_b32 s8, ttmp6, 15
	s_add_co_i32 s9, s4, 1
	s_getreg_b32 s3, hwreg(HW_REG_IB_STS2, 6, 4)
	s_mul_i32 s9, ttmp9, s9
	s_load_b128 s[4:7], s[0:1], 0x60
	s_add_co_i32 s8, s8, s9
	s_wait_kmcnt 0x0
	s_and_b32 s2, s2, 0xffff
	s_cmp_eq_u32 s3, 0
	s_cselect_b32 s8, ttmp9, s8
	s_delay_alu instid0(SALU_CYCLE_1) | instskip(SKIP_2) | instid1(VALU_DEP_1)
	v_mad_u32 v2, s8, s2, v0
	s_mul_u64 s[4:5], s[6:7], s[4:5]
	s_mov_b32 s2, exec_lo
	v_ashrrev_i32_e32 v3, 31, v2
	s_delay_alu instid0(VALU_DEP_1)
	v_cmpx_gt_i64_e64 s[4:5], v[2:3]
	s_cbranch_execz .LBB6_23
; %bb.1:
	v_dual_mov_b32 v4, 0 :: v_dual_bitop2_b32 v5, s7, v3 bitop3:0x54
                                        ; implicit-def: $vgpr0_vgpr1
	s_mov_b32 s2, exec_lo
	s_delay_alu instid0(VALU_DEP_1)
	v_cmpx_ne_u64_e32 0, v[4:5]
	s_xor_b32 s10, exec_lo, s2
	s_cbranch_execz .LBB6_3
; %bb.2:
	s_ashr_i32 s4, s7, 31
	s_mov_b32 s19, 0
	s_mov_b32 s5, s4
	v_dual_mov_b32 v9, v4 :: v_dual_ashrrev_i32 v0, 31, v3
	s_add_nc_u64 s[8:9], s[6:7], s[4:5]
	v_dual_mov_b32 v17, v4 :: v_dual_mov_b32 v5, v4
	s_xor_b64 s[8:9], s[8:9], s[4:5]
	s_delay_alu instid0(VALU_DEP_2) | instskip(SKIP_3) | instid1(VALU_DEP_1)
	v_mov_b32_e32 v1, v0
	s_cvt_f32_u32 s2, s8
	s_cvt_f32_u32 s5, s9
	s_sub_nc_u64 s[14:15], 0, s[8:9]
	v_add_nc_u64_e32 v[6:7], v[2:3], v[0:1]
	s_delay_alu instid0(SALU_CYCLE_1) | instskip(SKIP_1) | instid1(SALU_CYCLE_2)
	s_fmamk_f32 s2, s5, 0x4f800000, s2
	v_mov_b32_e32 v11, v4
	v_s_rcp_f32 s2, s2
	s_delay_alu instid0(VALU_DEP_2) | instskip(NEXT) | instid1(VALU_DEP_3)
	v_xor_b32_e32 v8, v6, v0
	v_xor_b32_e32 v10, v7, v0
	v_xor_b32_e32 v0, s4, v0
	s_delay_alu instid0(TRANS32_DEP_1) | instskip(NEXT) | instid1(SALU_CYCLE_3)
	s_mul_f32 s2, s2, 0x5f7ffffc
	s_mul_f32 s5, s2, 0x2f800000
	s_delay_alu instid0(SALU_CYCLE_3) | instskip(NEXT) | instid1(SALU_CYCLE_3)
	s_trunc_f32 s5, s5
	s_fmamk_f32 s2, s5, 0xcf800000, s2
	s_cvt_u32_f32 s13, s5
	s_delay_alu instid0(SALU_CYCLE_2) | instskip(NEXT) | instid1(SALU_CYCLE_3)
	s_cvt_u32_f32 s12, s2
	s_mul_u64 s[16:17], s[14:15], s[12:13]
	s_delay_alu instid0(SALU_CYCLE_1)
	s_mul_hi_u32 s21, s12, s17
	s_mul_i32 s20, s12, s17
	s_mul_hi_u32 s18, s12, s16
	s_mul_i32 s5, s13, s16
	s_add_nc_u64 s[20:21], s[18:19], s[20:21]
	s_mul_hi_u32 s2, s13, s16
	s_mul_hi_u32 s11, s13, s17
	s_add_co_u32 s5, s20, s5
	s_add_co_ci_u32 s18, s21, s2
	s_mul_i32 s16, s13, s17
	s_add_co_ci_u32 s17, s11, 0
	s_delay_alu instid0(SALU_CYCLE_1) | instskip(NEXT) | instid1(SALU_CYCLE_1)
	s_add_nc_u64 s[16:17], s[18:19], s[16:17]
	s_add_co_u32 s12, s12, s16
	s_cselect_b32 s2, -1, 0
	s_delay_alu instid0(SALU_CYCLE_1) | instskip(SKIP_1) | instid1(SALU_CYCLE_1)
	s_cmp_lg_u32 s2, 0
	s_add_co_ci_u32 s13, s13, s17
	s_mul_u64 s[14:15], s[14:15], s[12:13]
	s_delay_alu instid0(SALU_CYCLE_1)
	s_mul_hi_u32 s17, s12, s15
	s_mul_i32 s16, s12, s15
	s_mul_hi_u32 s18, s12, s14
	s_mul_i32 s5, s13, s14
	s_add_nc_u64 s[16:17], s[18:19], s[16:17]
	s_mul_hi_u32 s2, s13, s14
	s_mul_hi_u32 s11, s13, s15
	s_add_co_u32 s5, s16, s5
	s_add_co_ci_u32 s18, s17, s2
	s_mul_i32 s14, s13, s15
	s_add_co_ci_u32 s15, s11, 0
	s_delay_alu instid0(SALU_CYCLE_1) | instskip(NEXT) | instid1(SALU_CYCLE_1)
	s_add_nc_u64 s[14:15], s[18:19], s[14:15]
	s_add_co_u32 s2, s12, s14
	s_cselect_b32 s5, -1, 0
	v_mul_hi_u32 v16, v8, s2
	s_cmp_lg_u32 s5, 0
	s_add_co_ci_u32 s18, s13, s15
	s_mov_b64 s[12:13], 0xffffffff
	v_mul_u64_e32 v[12:13], s[18:19], v[8:9]
	s_and_b64 s[12:13], s[2:3], s[12:13]
	v_mul_u64_e32 v[14:15], s[18:19], v[10:11]
	v_mul_u64_e32 v[6:7], s[12:13], v[10:11]
	s_delay_alu instid0(VALU_DEP_3) | instskip(NEXT) | instid1(VALU_DEP_1)
	v_add_nc_u64_e32 v[12:13], v[16:17], v[12:13]
	v_add_co_u32 v1, vcc_lo, v12, v6
	s_delay_alu instid0(VALU_DEP_2) | instskip(SKIP_1) | instid1(VALU_DEP_1)
	v_add_co_ci_u32_e32 v4, vcc_lo, v13, v7, vcc_lo
	v_add_co_ci_u32_e32 v15, vcc_lo, 0, v15, vcc_lo
	v_add_nc_u64_e32 v[4:5], v[4:5], v[14:15]
	s_delay_alu instid0(VALU_DEP_1) | instskip(NEXT) | instid1(VALU_DEP_1)
	v_mul_u64_e32 v[6:7], s[8:9], v[4:5]
	v_sub_nc_u32_e32 v1, v10, v7
	s_delay_alu instid0(VALU_DEP_2) | instskip(NEXT) | instid1(VALU_DEP_1)
	v_sub_co_u32 v6, vcc_lo, v8, v6
	v_sub_co_ci_u32_e64 v10, null, v10, v7, vcc_lo
	s_delay_alu instid0(VALU_DEP_3) | instskip(NEXT) | instid1(VALU_DEP_3)
	v_subrev_co_ci_u32_e64 v1, null, s9, v1, vcc_lo
	v_sub_co_u32 v8, s2, v6, s8
	s_delay_alu instid0(VALU_DEP_1) | instskip(NEXT) | instid1(VALU_DEP_2)
	v_subrev_co_ci_u32_e64 v1, null, 0, v1, s2
	v_cmp_le_u32_e32 vcc_lo, s8, v8
	v_cndmask_b32_e64 v7, 0, -1, vcc_lo
	s_delay_alu instid0(VALU_DEP_3)
	v_cmp_le_u32_e32 vcc_lo, s9, v1
	v_cndmask_b32_e64 v8, 0, -1, vcc_lo
	v_cmp_le_u32_e32 vcc_lo, s8, v6
	v_cndmask_b32_e64 v11, 0, -1, vcc_lo
	;; [unrolled: 2-line block ×3, first 2 shown]
	v_cmp_eq_u32_e32 vcc_lo, s9, v1
	v_cndmask_b32_e32 v1, v8, v7, vcc_lo
	v_cmp_eq_u32_e32 vcc_lo, s9, v10
	v_add_nc_u64_e32 v[6:7], 2, v[4:5]
	v_add_nc_u64_e32 v[8:9], 1, v[4:5]
	v_cndmask_b32_e32 v10, v12, v11, vcc_lo
	v_cmp_ne_u32_e32 vcc_lo, 0, v1
	s_delay_alu instid0(VALU_DEP_2) | instskip(NEXT) | instid1(VALU_DEP_4)
	v_cmp_ne_u32_e64 s2, 0, v10
	v_dual_cndmask_b32 v6, v8, v6 :: v_dual_cndmask_b32 v1, v9, v7
	s_delay_alu instid0(VALU_DEP_1) | instskip(SKIP_1) | instid1(VALU_DEP_2)
	v_dual_cndmask_b32 v4, v4, v6, s2 :: v_dual_cndmask_b32 v5, v5, v1, s2
	v_mov_b32_e32 v1, v0
	v_xor_b32_e32 v4, v4, v0
	s_delay_alu instid0(VALU_DEP_3) | instskip(NEXT) | instid1(VALU_DEP_1)
	v_xor_b32_e32 v5, v5, v0
	v_sub_nc_u64_e32 v[0:1], v[4:5], v[0:1]
.LBB6_3:
	s_and_not1_saveexec_b32 s2, s10
	s_cbranch_execz .LBB6_5
; %bb.4:
	v_cvt_f32_u32_e32 v0, s6
	s_sub_co_i32 s4, 0, s6
	s_delay_alu instid0(VALU_DEP_1) | instskip(SKIP_1) | instid1(TRANS32_DEP_1)
	v_rcp_iflag_f32_e32 v0, v0
	v_nop
	v_mul_f32_e32 v0, 0x4f7ffffe, v0
	s_delay_alu instid0(VALU_DEP_1) | instskip(NEXT) | instid1(VALU_DEP_1)
	v_cvt_u32_f32_e32 v0, v0
	v_mul_lo_u32 v1, s4, v0
	s_delay_alu instid0(VALU_DEP_1) | instskip(NEXT) | instid1(VALU_DEP_1)
	v_mul_hi_u32 v1, v0, v1
	v_add_nc_u32_e32 v0, v0, v1
	s_delay_alu instid0(VALU_DEP_1) | instskip(NEXT) | instid1(VALU_DEP_1)
	v_mul_hi_u32 v0, v2, v0
	v_mul_lo_u32 v1, v0, s6
	s_delay_alu instid0(VALU_DEP_1) | instskip(NEXT) | instid1(VALU_DEP_1)
	v_sub_nc_u32_e32 v1, v2, v1
	v_subrev_nc_u32_e32 v5, s6, v1
	v_cmp_le_u32_e32 vcc_lo, s6, v1
	s_delay_alu instid0(VALU_DEP_2) | instskip(NEXT) | instid1(VALU_DEP_1)
	v_dual_cndmask_b32 v1, v1, v5 :: v_dual_add_nc_u32 v4, 1, v0
	v_cndmask_b32_e32 v0, v0, v4, vcc_lo
	s_delay_alu instid0(VALU_DEP_2) | instskip(NEXT) | instid1(VALU_DEP_2)
	v_cmp_le_u32_e32 vcc_lo, s6, v1
	v_dual_mov_b32 v1, 0 :: v_dual_add_nc_u32 v4, 1, v0
	s_delay_alu instid0(VALU_DEP_1)
	v_cndmask_b32_e32 v0, v0, v4, vcc_lo
.LBB6_5:
	s_or_b32 exec_lo, exec_lo, s2
	s_delay_alu instid0(VALU_DEP_1)
	v_mul_u64_e32 v[4:5], s[6:7], v[0:1]
	s_load_b256 s[8:15], s[0:1], 0xb8
	v_ashrrev_i32_e32 v1, 31, v0
	s_bfe_u32 s2, ttmp6, 0x40010
	s_bfe_u32 s5, ttmp6, 0x40014
	s_and_b32 s4, ttmp7, 0xffff
	s_add_co_i32 s2, s2, 1
	s_lshr_b32 s6, ttmp7, 16
	s_add_co_i32 s5, s5, 1
	s_mul_i32 s2, s4, s2
	s_bfe_u32 s7, ttmp6, 0x40004
	s_mul_i32 s5, s6, s5
	s_delay_alu instid0(VALU_DEP_2) | instskip(SKIP_3) | instid1(VALU_DEP_2)
	v_sub_nc_u64_e32 v[2:3], v[2:3], v[4:5]
	s_wait_kmcnt 0x0
	v_mul_u64_e32 v[4:5], s[12:13], v[0:1]
	s_load_b64 s[12:13], s[0:1], 0x90
	v_mul_u64_e32 v[6:7], s[14:15], v[2:3]
	s_bfe_u32 s14, ttmp6, 0x40008
	s_add_co_i32 s15, s7, s2
	s_add_co_i32 s14, s14, s5
	s_cmp_eq_u32 s3, 0
	s_mov_b32 s7, 0
	s_cselect_b32 s6, s6, s14
	s_cselect_b32 s4, s4, s15
	s_mul_u64 s[2:3], s[8:9], s[6:7]
	s_mov_b32 s5, s7
	s_lshl_b64 s[2:3], s[2:3], 3
	s_mul_u64 s[8:9], s[10:11], s[4:5]
	s_mov_b32 s14, s7
	s_lshl_b64 s[8:9], s[8:9], 3
	s_wait_kmcnt 0x0
	s_add_nc_u64 s[2:3], s[12:13], s[2:3]
	s_delay_alu instid0(SALU_CYCLE_1)
	s_add_nc_u64 s[2:3], s[2:3], s[8:9]
	s_delay_alu instid0(VALU_DEP_2) | instid1(SALU_CYCLE_1)
	v_lshl_add_u64 v[4:5], v[4:5], 3, s[2:3]
	s_mov_b32 s2, exec_lo
	s_delay_alu instid0(VALU_DEP_1) | instskip(SKIP_3) | instid1(VALU_DEP_1)
	v_lshl_add_u64 v[4:5], v[6:7], 3, v[4:5]
	global_load_b64 v[10:11], v[4:5], off
	s_wait_loadcnt 0x0
	v_and_b32_e32 v4, 0x80000000, v10
	v_cmpx_ne_u32_e32 0, v4
	s_xor_b32 s2, exec_lo, s2
	s_cbranch_execnz .LBB6_14
; %bb.6:
	s_or_saveexec_b32 s15, s2
	s_mov_b32 s2, s7
                                        ; implicit-def: $vgpr6_vgpr7
                                        ; implicit-def: $vgpr8_vgpr9
                                        ; implicit-def: $vgpr4_vgpr5
	s_xor_b32 exec_lo, exec_lo, s15
	s_cbranch_execz .LBB6_15
.LBB6_7:
	s_load_b64 s[8:9], s[0:1], 0x20
	v_and_b32_e32 v4, 0x7fffffff, v10
	v_mov_b32_e32 v5, 0
	s_wait_kmcnt 0x0
	s_and_b64 s[2:3], s[8:9], 0xffffffff00000000
	s_delay_alu instid0(SALU_CYCLE_1)
	s_cmp_lg_u64 s[2:3], 0
	s_cbranch_scc0 .LBB6_13
; %bb.8:
	s_ashr_i32 s10, s9, 31
	v_add_nc_u64_e32 v[6:7], 0, v[4:5]
	s_mov_b32 s11, s10
	v_mov_b32_e32 v9, v5
	s_add_nc_u64 s[2:3], s[8:9], s[10:11]
	v_mov_b32_e32 v11, v5
	s_xor_b64 s[12:13], s[2:3], s[10:11]
	v_mov_b32_e32 v15, v5
	s_cvt_f32_u32 s2, s12
	s_cvt_f32_u32 s3, s13
	s_sub_nc_u64 s[18:19], 0, s[12:13]
	v_dual_mov_b32 v8, v6 :: v_dual_mov_b32 v10, v7
	s_delay_alu instid0(SALU_CYCLE_1) | instskip(NEXT) | instid1(SALU_CYCLE_3)
	s_fmamk_f32 s2, s3, 0x4f800000, s2
	v_s_rcp_f32 s2, s2
	s_delay_alu instid0(TRANS32_DEP_1) | instskip(NEXT) | instid1(SALU_CYCLE_3)
	s_mul_f32 s2, s2, 0x5f7ffffc
	s_mul_f32 s3, s2, 0x2f800000
	s_delay_alu instid0(SALU_CYCLE_3) | instskip(NEXT) | instid1(SALU_CYCLE_3)
	s_trunc_f32 s3, s3
	s_fmamk_f32 s2, s3, 0xcf800000, s2
	s_cvt_u32_f32 s17, s3
	s_mov_b32 s3, 0
	s_delay_alu instid0(SALU_CYCLE_1) | instskip(NEXT) | instid1(SALU_CYCLE_3)
	s_cvt_u32_f32 s16, s2
	s_mul_u64 s[20:21], s[18:19], s[16:17]
	s_delay_alu instid0(SALU_CYCLE_1)
	s_mul_hi_u32 s23, s16, s21
	s_mul_i32 s22, s16, s21
	s_mul_hi_u32 s2, s16, s20
	s_mul_i32 s24, s17, s20
	s_add_nc_u64 s[22:23], s[2:3], s[22:23]
	s_mul_hi_u32 s11, s17, s20
	s_mul_hi_u32 s25, s17, s21
	s_add_co_u32 s2, s22, s24
	s_add_co_ci_u32 s2, s23, s11
	s_mul_i32 s20, s17, s21
	s_add_co_ci_u32 s21, s25, 0
	s_delay_alu instid0(SALU_CYCLE_1) | instskip(NEXT) | instid1(SALU_CYCLE_1)
	s_add_nc_u64 s[20:21], s[2:3], s[20:21]
	s_add_co_u32 s16, s16, s20
	s_cselect_b32 s2, -1, 0
	s_delay_alu instid0(SALU_CYCLE_1) | instskip(SKIP_1) | instid1(SALU_CYCLE_1)
	s_cmp_lg_u32 s2, 0
	s_add_co_ci_u32 s17, s17, s21
	s_mul_u64 s[18:19], s[18:19], s[16:17]
	s_delay_alu instid0(SALU_CYCLE_1)
	s_mul_hi_u32 s21, s16, s19
	s_mul_i32 s20, s16, s19
	s_mul_hi_u32 s2, s16, s18
	s_mul_i32 s22, s17, s18
	s_add_nc_u64 s[20:21], s[2:3], s[20:21]
	s_mul_hi_u32 s11, s17, s18
	s_mul_hi_u32 s23, s17, s19
	s_add_co_u32 s2, s20, s22
	s_add_co_ci_u32 s2, s21, s11
	s_mul_i32 s18, s17, s19
	s_add_co_ci_u32 s19, s23, 0
	s_delay_alu instid0(SALU_CYCLE_1) | instskip(NEXT) | instid1(SALU_CYCLE_1)
	s_add_nc_u64 s[18:19], s[2:3], s[18:19]
	s_add_co_u32 s16, s16, s18
	s_cselect_b32 s2, -1, 0
	v_mul_hi_u32 v14, v6, s16
	s_cmp_lg_u32 s2, 0
	s_add_co_ci_u32 s2, s17, s19
	s_mov_b64 s[18:19], 0xffffffff
	v_mul_u64_e32 v[8:9], s[2:3], v[8:9]
	s_and_b64 s[18:19], s[16:17], s[18:19]
	s_delay_alu instid0(SALU_CYCLE_1) | instskip(SKIP_1) | instid1(VALU_DEP_3)
	v_mul_u64_e32 v[12:13], s[18:19], v[10:11]
	v_mul_u64_e32 v[10:11], s[2:3], v[10:11]
	v_add_nc_u64_e32 v[8:9], v[14:15], v[8:9]
	s_delay_alu instid0(VALU_DEP_1) | instskip(NEXT) | instid1(VALU_DEP_2)
	v_add_co_u32 v8, vcc_lo, v8, v12
	v_add_co_ci_u32_e32 v14, vcc_lo, v9, v13, vcc_lo
	s_delay_alu instid0(VALU_DEP_4) | instskip(NEXT) | instid1(VALU_DEP_1)
	v_add_co_ci_u32_e32 v11, vcc_lo, 0, v11, vcc_lo
	v_add_nc_u64_e32 v[8:9], v[14:15], v[10:11]
	s_delay_alu instid0(VALU_DEP_1) | instskip(NEXT) | instid1(VALU_DEP_1)
	v_mul_u64_e32 v[10:11], s[12:13], v[8:9]
	v_sub_nc_u32_e32 v12, v7, v11
	s_delay_alu instid0(VALU_DEP_2) | instskip(NEXT) | instid1(VALU_DEP_1)
	v_sub_co_u32 v6, vcc_lo, v6, v10
	v_sub_co_ci_u32_e64 v11, null, v7, v11, vcc_lo
	s_delay_alu instid0(VALU_DEP_3) | instskip(NEXT) | instid1(VALU_DEP_3)
	v_subrev_co_ci_u32_e64 v10, null, s13, v12, vcc_lo
	v_sub_co_u32 v14, s2, v6, s12
	v_cmp_le_u32_e32 vcc_lo, s12, v6
	s_delay_alu instid0(VALU_DEP_3) | instskip(NEXT) | instid1(VALU_DEP_3)
	v_subrev_co_ci_u32_e64 v10, null, 0, v10, s2
	v_cmp_le_u32_e64 s2, s12, v14
	v_add_nc_u64_e32 v[12:13], 2, v[8:9]
	v_cndmask_b32_e64 v16, 0, -1, vcc_lo
	s_delay_alu instid0(VALU_DEP_4) | instskip(SKIP_3) | instid1(VALU_DEP_1)
	v_cmp_eq_u32_e32 vcc_lo, s13, v10
	v_add_nc_u64_e32 v[6:7], 1, v[8:9]
	v_cndmask_b32_e64 v14, 0, -1, s2
	v_cmp_le_u32_e64 s2, s13, v10
	v_cndmask_b32_e64 v15, 0, -1, s2
	v_cmp_eq_u32_e64 s2, s13, v11
	s_delay_alu instid0(VALU_DEP_2) | instskip(SKIP_2) | instid1(VALU_DEP_3)
	v_cndmask_b32_e32 v10, v15, v14, vcc_lo
	v_cmp_le_u32_e32 vcc_lo, s13, v11
	v_cndmask_b32_e64 v14, 0, -1, vcc_lo
	v_cmp_ne_u32_e32 vcc_lo, 0, v10
	s_delay_alu instid0(VALU_DEP_2) | instskip(SKIP_1) | instid1(VALU_DEP_2)
	v_dual_cndmask_b32 v10, v14, v16, s2 :: v_dual_cndmask_b32 v7, v7, v13, vcc_lo
	v_cndmask_b32_e32 v6, v6, v12, vcc_lo
	v_cmp_ne_u32_e32 vcc_lo, 0, v10
	s_delay_alu instid0(VALU_DEP_2) | instskip(SKIP_1) | instid1(VALU_DEP_2)
	v_dual_cndmask_b32 v9, v9, v7 :: v_dual_cndmask_b32 v8, v8, v6
	v_dual_mov_b32 v7, s10 :: v_dual_mov_b32 v6, s10
	v_xor_b32_e32 v9, s10, v9
	s_delay_alu instid0(VALU_DEP_3) | instskip(NEXT) | instid1(VALU_DEP_1)
	v_xor_b32_e32 v8, s10, v8
	v_sub_nc_u64_e32 v[6:7], v[8:9], v[6:7]
	s_cbranch_execnz .LBB6_10
.LBB6_9:
	v_cvt_f32_u32_e32 v6, s8
	s_sub_co_i32 s2, 0, s8
	s_delay_alu instid0(VALU_DEP_1) | instskip(SKIP_1) | instid1(TRANS32_DEP_1)
	v_rcp_iflag_f32_e32 v6, v6
	v_nop
	v_mul_f32_e32 v6, 0x4f7ffffe, v6
	s_delay_alu instid0(VALU_DEP_1) | instskip(NEXT) | instid1(VALU_DEP_1)
	v_cvt_u32_f32_e32 v6, v6
	v_mul_lo_u32 v7, s2, v6
	s_delay_alu instid0(VALU_DEP_1) | instskip(NEXT) | instid1(VALU_DEP_1)
	v_mul_hi_u32 v7, v6, v7
	v_add_nc_u32_e32 v6, v6, v7
	s_delay_alu instid0(VALU_DEP_1) | instskip(NEXT) | instid1(VALU_DEP_1)
	v_mul_hi_u32 v6, v4, v6
	v_mul_lo_u32 v7, v6, s8
	s_delay_alu instid0(VALU_DEP_1) | instskip(NEXT) | instid1(VALU_DEP_1)
	v_dual_add_nc_u32 v8, 1, v6 :: v_dual_sub_nc_u32 v7, v4, v7
	v_subrev_nc_u32_e32 v9, s8, v7
	v_cmp_le_u32_e32 vcc_lo, s8, v7
	s_delay_alu instid0(VALU_DEP_2) | instskip(NEXT) | instid1(VALU_DEP_1)
	v_dual_cndmask_b32 v7, v7, v9 :: v_dual_cndmask_b32 v6, v6, v8
	v_cmp_le_u32_e32 vcc_lo, s8, v7
	s_delay_alu instid0(VALU_DEP_2) | instskip(NEXT) | instid1(VALU_DEP_1)
	v_dual_mov_b32 v7, 0 :: v_dual_add_nc_u32 v8, 1, v6
	v_cndmask_b32_e32 v6, v6, v8, vcc_lo
.LBB6_10:
	s_load_b64 s[2:3], s[0:1], 0x18
	s_wait_kmcnt 0x0
	s_delay_alu instid0(VALU_DEP_1)
	v_cmp_le_i64_e32 vcc_lo, s[2:3], v[6:7]
	s_mov_b32 s2, -1
	s_mov_b32 s3, s14
	s_and_saveexec_b32 s10, vcc_lo
	s_cbranch_execnz .LBB6_24
.LBB6_11:
	s_or_b32 exec_lo, exec_lo, s10
	v_mov_b64_e32 v[8:9], s[8:9]
	s_and_not1_b32 s8, s14, exec_lo
	s_and_b32 s3, s3, exec_lo
	s_and_b32 s2, s2, exec_lo
	s_or_b32 s14, s8, s3
	s_or_b32 exec_lo, exec_lo, s15
	s_and_saveexec_b32 s3, s14
	s_cbranch_execnz .LBB6_16
.LBB6_12:
	s_or_b32 exec_lo, exec_lo, s3
	s_delay_alu instid0(SALU_CYCLE_1)
	s_and_b32 exec_lo, exec_lo, s2
	s_cbranch_execnz .LBB6_17
	s_branch .LBB6_23
.LBB6_13:
                                        ; implicit-def: $vgpr6_vgpr7
	s_branch .LBB6_9
.LBB6_14:
	s_mov_b32 s14, exec_lo
	s_trap 2
                                        ; implicit-def: $vgpr10_vgpr11
	s_or_saveexec_b32 s15, s2
	s_mov_b32 s2, s7
                                        ; implicit-def: $vgpr6_vgpr7
                                        ; implicit-def: $vgpr8_vgpr9
                                        ; implicit-def: $vgpr4_vgpr5
	s_xor_b32 exec_lo, exec_lo, s15
	s_cbranch_execnz .LBB6_7
.LBB6_15:
	s_or_b32 exec_lo, exec_lo, s15
	s_and_saveexec_b32 s3, s14
	s_cbranch_execz .LBB6_12
.LBB6_16:
	; divergent unreachable
	s_or_b32 exec_lo, exec_lo, s3
	s_delay_alu instid0(SALU_CYCLE_1)
	s_and_b32 exec_lo, exec_lo, s2
	s_cbranch_execz .LBB6_23
.LBB6_17:
	v_mul_u64_e32 v[8:9], v[6:7], v[8:9]
	s_clause 0x2
	s_load_b256 s[8:15], s[0:1], 0x28
	s_load_b256 s[16:23], s[0:1], 0x70
	s_load_b64 s[2:3], s[0:1], 0x0
	s_wait_kmcnt 0x0
	v_mul_u64_e32 v[6:7], s[12:13], v[6:7]
	v_mul_u64_e32 v[0:1], s[20:21], v[0:1]
	;; [unrolled: 1-line block ×3, first 2 shown]
	s_mul_u64 s[8:9], s[8:9], s[6:7]
	s_load_b64 s[0:1], s[0:1], 0x48
	s_mul_u64 s[10:11], s[10:11], s[4:5]
	s_lshl_b64 s[8:9], s[8:9], 1
	s_lshl_b64 s[10:11], s[10:11], 1
	s_add_nc_u64 s[2:3], s[2:3], s[8:9]
	s_mul_u64 s[4:5], s[18:19], s[4:5]
	s_add_nc_u64 s[2:3], s[2:3], s[10:11]
	s_delay_alu instid0(VALU_DEP_4) | instskip(NEXT) | instid1(VALU_DEP_1)
	v_sub_nc_u64_e32 v[4:5], v[4:5], v[8:9]
	v_mul_u64_e32 v[4:5], s[14:15], v[4:5]
	v_lshl_add_u64 v[6:7], v[6:7], 1, s[2:3]
	s_mul_u64 s[2:3], s[16:17], s[6:7]
	s_delay_alu instid0(SALU_CYCLE_1) | instskip(SKIP_3) | instid1(SALU_CYCLE_1)
	s_lshl_b64 s[2:3], s[2:3], 1
	s_wait_kmcnt 0x0
	s_add_nc_u64 s[0:1], s[0:1], s[2:3]
	s_lshl_b64 s[2:3], s[4:5], 1
	s_add_nc_u64 s[0:1], s[0:1], s[2:3]
	s_mov_b32 s2, 0
	v_lshl_add_u64 v[10:11], v[0:1], 1, s[0:1]
	s_delay_alu instid0(VALU_DEP_3) | instskip(NEXT) | instid1(VALU_DEP_1)
	v_lshl_add_u64 v[4:5], v[4:5], 1, v[6:7]
	v_dual_mov_b32 v7, 0 :: v_dual_bitop2_b32 v6, 2, v4 bitop3:0x40
	s_delay_alu instid0(VALU_DEP_1) | instskip(SKIP_2) | instid1(VALU_DEP_3)
	v_sub_nc_u64_e32 v[8:9], 0, v[6:7]
	v_cmp_ne_u32_e64 s0, 0, v6
	v_cmp_eq_u64_e32 vcc_lo, 0, v[6:7]
	v_add_nc_u64_e32 v[0:1], v[4:5], v[8:9]
	v_lshl_add_u64 v[8:9], v[2:3], 1, v[10:11]
	global_load_u16 v4, v[8:9], off
	global_load_b32 v3, v[0:1], off
	s_branch .LBB6_19
.LBB6_18:                               ;   in Loop: Header=BB6_19 Depth=1
	s_or_b32 exec_lo, exec_lo, s1
	global_atomic_cmpswap_b32 v2, v[0:1], v[2:3], off th:TH_ATOMIC_RETURN scope:SCOPE_DEV
	s_wait_loadcnt 0x0
	v_cmp_eq_u32_e64 s1, v3, v2
	v_mov_b32_e32 v3, v2
	s_or_b32 s2, s1, s2
	s_delay_alu instid0(SALU_CYCLE_1)
	s_and_not1_b32 exec_lo, exec_lo, s2
	s_cbranch_execz .LBB6_23
.LBB6_19:                               ; =>This Inner Loop Header: Depth=1
	s_wait_loadcnt 0x0
	v_lshrrev_b32_e32 v2, 16, v3
	s_delay_alu instid0(VALU_DEP_1) | instskip(NEXT) | instid1(VALU_DEP_1)
	v_cndmask_b32_e32 v2, v2, v3, vcc_lo
	v_add_f16_e32 v2, v4, v2
	s_delay_alu instid0(VALU_DEP_1) | instskip(SKIP_1) | instid1(SALU_CYCLE_1)
	v_and_b32_e32 v5, 0xffff, v2
	s_and_saveexec_b32 s1, s0
	s_xor_b32 s1, exec_lo, s1
; %bb.20:                               ;   in Loop: Header=BB6_19 Depth=1
	v_and_b32_e32 v2, 0xffff, v3
	s_delay_alu instid0(VALU_DEP_1)
	v_lshl_or_b32 v2, v5, 16, v2
                                        ; implicit-def: $vgpr5
; %bb.21:                               ;   in Loop: Header=BB6_19 Depth=1
	s_and_not1_saveexec_b32 s1, s1
	s_cbranch_execz .LBB6_18
; %bb.22:                               ;   in Loop: Header=BB6_19 Depth=1
	v_and_or_b32 v2, 0xffff0000, v3, v5
	s_branch .LBB6_18
.LBB6_23:
	s_endpgm
.LBB6_24:
	s_xor_b32 s2, exec_lo, -1
	s_or_b32 s3, s14, exec_lo
	s_trap 2
	s_branch .LBB6_11
	.section	.rodata,"a",@progbits
	.p2align	6, 0x0
	.amdhsa_kernel _ZN2at6native12_GLOBAL__N_145fractional_max_pool2d_backward_out_cuda_frameIN3c104HalfEEEvN5torch10headeronly6detail27GenericPackedTensorAccessorINS7_14TensorAccessorINS3_8ArrayRefIlEET_Lm3ENS6_16DefaultPtrTraitsElEENS_6detail16IndexBoundsCheckILm4ElEESC_Lm4ESD_lEENS8_INS9_ISB_KSC_Lm3ESD_lEESH_SJ_Lm4ESD_lEENS8_INS9_ISB_KlLm3ESD_lEESH_SM_Lm4ESD_lEE
		.amdhsa_group_segment_fixed_size 0
		.amdhsa_private_segment_fixed_size 0
		.amdhsa_kernarg_size 472
		.amdhsa_user_sgpr_count 2
		.amdhsa_user_sgpr_dispatch_ptr 0
		.amdhsa_user_sgpr_queue_ptr 0
		.amdhsa_user_sgpr_kernarg_segment_ptr 1
		.amdhsa_user_sgpr_dispatch_id 0
		.amdhsa_user_sgpr_kernarg_preload_length 0
		.amdhsa_user_sgpr_kernarg_preload_offset 0
		.amdhsa_user_sgpr_private_segment_size 0
		.amdhsa_wavefront_size32 1
		.amdhsa_uses_dynamic_stack 0
		.amdhsa_enable_private_segment 0
		.amdhsa_system_sgpr_workgroup_id_x 1
		.amdhsa_system_sgpr_workgroup_id_y 1
		.amdhsa_system_sgpr_workgroup_id_z 1
		.amdhsa_system_sgpr_workgroup_info 0
		.amdhsa_system_vgpr_workitem_id 0
		.amdhsa_next_free_vgpr 18
		.amdhsa_next_free_sgpr 26
		.amdhsa_named_barrier_count 0
		.amdhsa_reserve_vcc 1
		.amdhsa_float_round_mode_32 0
		.amdhsa_float_round_mode_16_64 0
		.amdhsa_float_denorm_mode_32 3
		.amdhsa_float_denorm_mode_16_64 3
		.amdhsa_fp16_overflow 0
		.amdhsa_memory_ordered 1
		.amdhsa_forward_progress 1
		.amdhsa_inst_pref_size 19
		.amdhsa_round_robin_scheduling 0
		.amdhsa_exception_fp_ieee_invalid_op 0
		.amdhsa_exception_fp_denorm_src 0
		.amdhsa_exception_fp_ieee_div_zero 0
		.amdhsa_exception_fp_ieee_overflow 0
		.amdhsa_exception_fp_ieee_underflow 0
		.amdhsa_exception_fp_ieee_inexact 0
		.amdhsa_exception_int_div_zero 0
	.end_amdhsa_kernel
	.section	.text._ZN2at6native12_GLOBAL__N_145fractional_max_pool2d_backward_out_cuda_frameIN3c104HalfEEEvN5torch10headeronly6detail27GenericPackedTensorAccessorINS7_14TensorAccessorINS3_8ArrayRefIlEET_Lm3ENS6_16DefaultPtrTraitsElEENS_6detail16IndexBoundsCheckILm4ElEESC_Lm4ESD_lEENS8_INS9_ISB_KSC_Lm3ESD_lEESH_SJ_Lm4ESD_lEENS8_INS9_ISB_KlLm3ESD_lEESH_SM_Lm4ESD_lEE,"axG",@progbits,_ZN2at6native12_GLOBAL__N_145fractional_max_pool2d_backward_out_cuda_frameIN3c104HalfEEEvN5torch10headeronly6detail27GenericPackedTensorAccessorINS7_14TensorAccessorINS3_8ArrayRefIlEET_Lm3ENS6_16DefaultPtrTraitsElEENS_6detail16IndexBoundsCheckILm4ElEESC_Lm4ESD_lEENS8_INS9_ISB_KSC_Lm3ESD_lEESH_SJ_Lm4ESD_lEENS8_INS9_ISB_KlLm3ESD_lEESH_SM_Lm4ESD_lEE,comdat
.Lfunc_end6:
	.size	_ZN2at6native12_GLOBAL__N_145fractional_max_pool2d_backward_out_cuda_frameIN3c104HalfEEEvN5torch10headeronly6detail27GenericPackedTensorAccessorINS7_14TensorAccessorINS3_8ArrayRefIlEET_Lm3ENS6_16DefaultPtrTraitsElEENS_6detail16IndexBoundsCheckILm4ElEESC_Lm4ESD_lEENS8_INS9_ISB_KSC_Lm3ESD_lEESH_SJ_Lm4ESD_lEENS8_INS9_ISB_KlLm3ESD_lEESH_SM_Lm4ESD_lEE, .Lfunc_end6-_ZN2at6native12_GLOBAL__N_145fractional_max_pool2d_backward_out_cuda_frameIN3c104HalfEEEvN5torch10headeronly6detail27GenericPackedTensorAccessorINS7_14TensorAccessorINS3_8ArrayRefIlEET_Lm3ENS6_16DefaultPtrTraitsElEENS_6detail16IndexBoundsCheckILm4ElEESC_Lm4ESD_lEENS8_INS9_ISB_KSC_Lm3ESD_lEESH_SJ_Lm4ESD_lEENS8_INS9_ISB_KlLm3ESD_lEESH_SM_Lm4ESD_lEE
                                        ; -- End function
	.set _ZN2at6native12_GLOBAL__N_145fractional_max_pool2d_backward_out_cuda_frameIN3c104HalfEEEvN5torch10headeronly6detail27GenericPackedTensorAccessorINS7_14TensorAccessorINS3_8ArrayRefIlEET_Lm3ENS6_16DefaultPtrTraitsElEENS_6detail16IndexBoundsCheckILm4ElEESC_Lm4ESD_lEENS8_INS9_ISB_KSC_Lm3ESD_lEESH_SJ_Lm4ESD_lEENS8_INS9_ISB_KlLm3ESD_lEESH_SM_Lm4ESD_lEE.num_vgpr, 18
	.set _ZN2at6native12_GLOBAL__N_145fractional_max_pool2d_backward_out_cuda_frameIN3c104HalfEEEvN5torch10headeronly6detail27GenericPackedTensorAccessorINS7_14TensorAccessorINS3_8ArrayRefIlEET_Lm3ENS6_16DefaultPtrTraitsElEENS_6detail16IndexBoundsCheckILm4ElEESC_Lm4ESD_lEENS8_INS9_ISB_KSC_Lm3ESD_lEESH_SJ_Lm4ESD_lEENS8_INS9_ISB_KlLm3ESD_lEESH_SM_Lm4ESD_lEE.num_agpr, 0
	.set _ZN2at6native12_GLOBAL__N_145fractional_max_pool2d_backward_out_cuda_frameIN3c104HalfEEEvN5torch10headeronly6detail27GenericPackedTensorAccessorINS7_14TensorAccessorINS3_8ArrayRefIlEET_Lm3ENS6_16DefaultPtrTraitsElEENS_6detail16IndexBoundsCheckILm4ElEESC_Lm4ESD_lEENS8_INS9_ISB_KSC_Lm3ESD_lEESH_SJ_Lm4ESD_lEENS8_INS9_ISB_KlLm3ESD_lEESH_SM_Lm4ESD_lEE.numbered_sgpr, 26
	.set _ZN2at6native12_GLOBAL__N_145fractional_max_pool2d_backward_out_cuda_frameIN3c104HalfEEEvN5torch10headeronly6detail27GenericPackedTensorAccessorINS7_14TensorAccessorINS3_8ArrayRefIlEET_Lm3ENS6_16DefaultPtrTraitsElEENS_6detail16IndexBoundsCheckILm4ElEESC_Lm4ESD_lEENS8_INS9_ISB_KSC_Lm3ESD_lEESH_SJ_Lm4ESD_lEENS8_INS9_ISB_KlLm3ESD_lEESH_SM_Lm4ESD_lEE.num_named_barrier, 0
	.set _ZN2at6native12_GLOBAL__N_145fractional_max_pool2d_backward_out_cuda_frameIN3c104HalfEEEvN5torch10headeronly6detail27GenericPackedTensorAccessorINS7_14TensorAccessorINS3_8ArrayRefIlEET_Lm3ENS6_16DefaultPtrTraitsElEENS_6detail16IndexBoundsCheckILm4ElEESC_Lm4ESD_lEENS8_INS9_ISB_KSC_Lm3ESD_lEESH_SJ_Lm4ESD_lEENS8_INS9_ISB_KlLm3ESD_lEESH_SM_Lm4ESD_lEE.private_seg_size, 0
	.set _ZN2at6native12_GLOBAL__N_145fractional_max_pool2d_backward_out_cuda_frameIN3c104HalfEEEvN5torch10headeronly6detail27GenericPackedTensorAccessorINS7_14TensorAccessorINS3_8ArrayRefIlEET_Lm3ENS6_16DefaultPtrTraitsElEENS_6detail16IndexBoundsCheckILm4ElEESC_Lm4ESD_lEENS8_INS9_ISB_KSC_Lm3ESD_lEESH_SJ_Lm4ESD_lEENS8_INS9_ISB_KlLm3ESD_lEESH_SM_Lm4ESD_lEE.uses_vcc, 1
	.set _ZN2at6native12_GLOBAL__N_145fractional_max_pool2d_backward_out_cuda_frameIN3c104HalfEEEvN5torch10headeronly6detail27GenericPackedTensorAccessorINS7_14TensorAccessorINS3_8ArrayRefIlEET_Lm3ENS6_16DefaultPtrTraitsElEENS_6detail16IndexBoundsCheckILm4ElEESC_Lm4ESD_lEENS8_INS9_ISB_KSC_Lm3ESD_lEESH_SJ_Lm4ESD_lEENS8_INS9_ISB_KlLm3ESD_lEESH_SM_Lm4ESD_lEE.uses_flat_scratch, 0
	.set _ZN2at6native12_GLOBAL__N_145fractional_max_pool2d_backward_out_cuda_frameIN3c104HalfEEEvN5torch10headeronly6detail27GenericPackedTensorAccessorINS7_14TensorAccessorINS3_8ArrayRefIlEET_Lm3ENS6_16DefaultPtrTraitsElEENS_6detail16IndexBoundsCheckILm4ElEESC_Lm4ESD_lEENS8_INS9_ISB_KSC_Lm3ESD_lEESH_SJ_Lm4ESD_lEENS8_INS9_ISB_KlLm3ESD_lEESH_SM_Lm4ESD_lEE.has_dyn_sized_stack, 0
	.set _ZN2at6native12_GLOBAL__N_145fractional_max_pool2d_backward_out_cuda_frameIN3c104HalfEEEvN5torch10headeronly6detail27GenericPackedTensorAccessorINS7_14TensorAccessorINS3_8ArrayRefIlEET_Lm3ENS6_16DefaultPtrTraitsElEENS_6detail16IndexBoundsCheckILm4ElEESC_Lm4ESD_lEENS8_INS9_ISB_KSC_Lm3ESD_lEESH_SJ_Lm4ESD_lEENS8_INS9_ISB_KlLm3ESD_lEESH_SM_Lm4ESD_lEE.has_recursion, 0
	.set _ZN2at6native12_GLOBAL__N_145fractional_max_pool2d_backward_out_cuda_frameIN3c104HalfEEEvN5torch10headeronly6detail27GenericPackedTensorAccessorINS7_14TensorAccessorINS3_8ArrayRefIlEET_Lm3ENS6_16DefaultPtrTraitsElEENS_6detail16IndexBoundsCheckILm4ElEESC_Lm4ESD_lEENS8_INS9_ISB_KSC_Lm3ESD_lEESH_SJ_Lm4ESD_lEENS8_INS9_ISB_KlLm3ESD_lEESH_SM_Lm4ESD_lEE.has_indirect_call, 0
	.section	.AMDGPU.csdata,"",@progbits
; Kernel info:
; codeLenInByte = 2392
; TotalNumSgprs: 28
; NumVgprs: 18
; ScratchSize: 0
; MemoryBound: 0
; FloatMode: 240
; IeeeMode: 1
; LDSByteSize: 0 bytes/workgroup (compile time only)
; SGPRBlocks: 0
; VGPRBlocks: 1
; NumSGPRsForWavesPerEU: 28
; NumVGPRsForWavesPerEU: 18
; NamedBarCnt: 0
; Occupancy: 16
; WaveLimiterHint : 1
; COMPUTE_PGM_RSRC2:SCRATCH_EN: 0
; COMPUTE_PGM_RSRC2:USER_SGPR: 2
; COMPUTE_PGM_RSRC2:TRAP_HANDLER: 0
; COMPUTE_PGM_RSRC2:TGID_X_EN: 1
; COMPUTE_PGM_RSRC2:TGID_Y_EN: 1
; COMPUTE_PGM_RSRC2:TGID_Z_EN: 1
; COMPUTE_PGM_RSRC2:TIDIG_COMP_CNT: 0
	.section	.text._ZN2at6native12_GLOBAL__N_145fractional_max_pool2d_backward_out_cuda_frameIN3c108BFloat16EEEvN5torch10headeronly6detail27GenericPackedTensorAccessorINS7_14TensorAccessorINS3_8ArrayRefIlEET_Lm3ENS6_16DefaultPtrTraitsElEENS_6detail16IndexBoundsCheckILm4ElEESC_Lm4ESD_lEENS8_INS9_ISB_KSC_Lm3ESD_lEESH_SJ_Lm4ESD_lEENS8_INS9_ISB_KlLm3ESD_lEESH_SM_Lm4ESD_lEE,"axG",@progbits,_ZN2at6native12_GLOBAL__N_145fractional_max_pool2d_backward_out_cuda_frameIN3c108BFloat16EEEvN5torch10headeronly6detail27GenericPackedTensorAccessorINS7_14TensorAccessorINS3_8ArrayRefIlEET_Lm3ENS6_16DefaultPtrTraitsElEENS_6detail16IndexBoundsCheckILm4ElEESC_Lm4ESD_lEENS8_INS9_ISB_KSC_Lm3ESD_lEESH_SJ_Lm4ESD_lEENS8_INS9_ISB_KlLm3ESD_lEESH_SM_Lm4ESD_lEE,comdat
	.globl	_ZN2at6native12_GLOBAL__N_145fractional_max_pool2d_backward_out_cuda_frameIN3c108BFloat16EEEvN5torch10headeronly6detail27GenericPackedTensorAccessorINS7_14TensorAccessorINS3_8ArrayRefIlEET_Lm3ENS6_16DefaultPtrTraitsElEENS_6detail16IndexBoundsCheckILm4ElEESC_Lm4ESD_lEENS8_INS9_ISB_KSC_Lm3ESD_lEESH_SJ_Lm4ESD_lEENS8_INS9_ISB_KlLm3ESD_lEESH_SM_Lm4ESD_lEE ; -- Begin function _ZN2at6native12_GLOBAL__N_145fractional_max_pool2d_backward_out_cuda_frameIN3c108BFloat16EEEvN5torch10headeronly6detail27GenericPackedTensorAccessorINS7_14TensorAccessorINS3_8ArrayRefIlEET_Lm3ENS6_16DefaultPtrTraitsElEENS_6detail16IndexBoundsCheckILm4ElEESC_Lm4ESD_lEENS8_INS9_ISB_KSC_Lm3ESD_lEESH_SJ_Lm4ESD_lEENS8_INS9_ISB_KlLm3ESD_lEESH_SM_Lm4ESD_lEE
	.p2align	8
	.type	_ZN2at6native12_GLOBAL__N_145fractional_max_pool2d_backward_out_cuda_frameIN3c108BFloat16EEEvN5torch10headeronly6detail27GenericPackedTensorAccessorINS7_14TensorAccessorINS3_8ArrayRefIlEET_Lm3ENS6_16DefaultPtrTraitsElEENS_6detail16IndexBoundsCheckILm4ElEESC_Lm4ESD_lEENS8_INS9_ISB_KSC_Lm3ESD_lEESH_SJ_Lm4ESD_lEENS8_INS9_ISB_KlLm3ESD_lEESH_SM_Lm4ESD_lEE,@function
_ZN2at6native12_GLOBAL__N_145fractional_max_pool2d_backward_out_cuda_frameIN3c108BFloat16EEEvN5torch10headeronly6detail27GenericPackedTensorAccessorINS7_14TensorAccessorINS3_8ArrayRefIlEET_Lm3ENS6_16DefaultPtrTraitsElEENS_6detail16IndexBoundsCheckILm4ElEESC_Lm4ESD_lEENS8_INS9_ISB_KSC_Lm3ESD_lEESH_SJ_Lm4ESD_lEENS8_INS9_ISB_KlLm3ESD_lEESH_SM_Lm4ESD_lEE: ; @_ZN2at6native12_GLOBAL__N_145fractional_max_pool2d_backward_out_cuda_frameIN3c108BFloat16EEEvN5torch10headeronly6detail27GenericPackedTensorAccessorINS7_14TensorAccessorINS3_8ArrayRefIlEET_Lm3ENS6_16DefaultPtrTraitsElEENS_6detail16IndexBoundsCheckILm4ElEESC_Lm4ESD_lEENS8_INS9_ISB_KSC_Lm3ESD_lEESH_SJ_Lm4ESD_lEENS8_INS9_ISB_KlLm3ESD_lEESH_SM_Lm4ESD_lEE
; %bb.0:
	s_load_b32 s2, s[0:1], 0xe4
	s_bfe_u32 s4, ttmp6, 0x4000c
	s_and_b32 s8, ttmp6, 15
	s_add_co_i32 s9, s4, 1
	s_getreg_b32 s3, hwreg(HW_REG_IB_STS2, 6, 4)
	s_mul_i32 s9, ttmp9, s9
	s_load_b128 s[4:7], s[0:1], 0x60
	s_add_co_i32 s8, s8, s9
	s_wait_kmcnt 0x0
	s_and_b32 s2, s2, 0xffff
	s_cmp_eq_u32 s3, 0
	s_cselect_b32 s8, ttmp9, s8
	s_delay_alu instid0(SALU_CYCLE_1) | instskip(SKIP_2) | instid1(VALU_DEP_1)
	v_mad_u32 v2, s8, s2, v0
	s_mul_u64 s[4:5], s[6:7], s[4:5]
	s_mov_b32 s2, exec_lo
	v_ashrrev_i32_e32 v3, 31, v2
	s_delay_alu instid0(VALU_DEP_1)
	v_cmpx_gt_i64_e64 s[4:5], v[2:3]
	s_cbranch_execz .LBB7_19
; %bb.1:
	v_dual_mov_b32 v4, 0 :: v_dual_bitop2_b32 v5, s7, v3 bitop3:0x54
                                        ; implicit-def: $vgpr0_vgpr1
	s_mov_b32 s2, exec_lo
	s_delay_alu instid0(VALU_DEP_1)
	v_cmpx_ne_u64_e32 0, v[4:5]
	s_xor_b32 s10, exec_lo, s2
	s_cbranch_execz .LBB7_3
; %bb.2:
	s_ashr_i32 s4, s7, 31
	s_mov_b32 s19, 0
	s_mov_b32 s5, s4
	v_dual_mov_b32 v9, v4 :: v_dual_ashrrev_i32 v0, 31, v3
	s_add_nc_u64 s[8:9], s[6:7], s[4:5]
	v_dual_mov_b32 v17, v4 :: v_dual_mov_b32 v5, v4
	s_xor_b64 s[8:9], s[8:9], s[4:5]
	s_delay_alu instid0(VALU_DEP_2) | instskip(SKIP_3) | instid1(VALU_DEP_1)
	v_mov_b32_e32 v1, v0
	s_cvt_f32_u32 s2, s8
	s_cvt_f32_u32 s5, s9
	s_sub_nc_u64 s[14:15], 0, s[8:9]
	v_add_nc_u64_e32 v[6:7], v[2:3], v[0:1]
	s_delay_alu instid0(SALU_CYCLE_1) | instskip(SKIP_1) | instid1(SALU_CYCLE_2)
	s_fmamk_f32 s2, s5, 0x4f800000, s2
	v_mov_b32_e32 v11, v4
	v_s_rcp_f32 s2, s2
	s_delay_alu instid0(VALU_DEP_2) | instskip(NEXT) | instid1(VALU_DEP_3)
	v_xor_b32_e32 v8, v6, v0
	v_xor_b32_e32 v10, v7, v0
	;; [unrolled: 1-line block ×3, first 2 shown]
	s_delay_alu instid0(TRANS32_DEP_1) | instskip(NEXT) | instid1(SALU_CYCLE_3)
	s_mul_f32 s2, s2, 0x5f7ffffc
	s_mul_f32 s5, s2, 0x2f800000
	s_delay_alu instid0(SALU_CYCLE_3) | instskip(NEXT) | instid1(SALU_CYCLE_3)
	s_trunc_f32 s5, s5
	s_fmamk_f32 s2, s5, 0xcf800000, s2
	s_cvt_u32_f32 s13, s5
	s_delay_alu instid0(SALU_CYCLE_2) | instskip(NEXT) | instid1(SALU_CYCLE_3)
	s_cvt_u32_f32 s12, s2
	s_mul_u64 s[16:17], s[14:15], s[12:13]
	s_delay_alu instid0(SALU_CYCLE_1)
	s_mul_hi_u32 s21, s12, s17
	s_mul_i32 s20, s12, s17
	s_mul_hi_u32 s18, s12, s16
	s_mul_i32 s5, s13, s16
	s_add_nc_u64 s[20:21], s[18:19], s[20:21]
	s_mul_hi_u32 s2, s13, s16
	s_mul_hi_u32 s11, s13, s17
	s_add_co_u32 s5, s20, s5
	s_add_co_ci_u32 s18, s21, s2
	s_mul_i32 s16, s13, s17
	s_add_co_ci_u32 s17, s11, 0
	s_delay_alu instid0(SALU_CYCLE_1) | instskip(NEXT) | instid1(SALU_CYCLE_1)
	s_add_nc_u64 s[16:17], s[18:19], s[16:17]
	s_add_co_u32 s12, s12, s16
	s_cselect_b32 s2, -1, 0
	s_delay_alu instid0(SALU_CYCLE_1) | instskip(SKIP_1) | instid1(SALU_CYCLE_1)
	s_cmp_lg_u32 s2, 0
	s_add_co_ci_u32 s13, s13, s17
	s_mul_u64 s[14:15], s[14:15], s[12:13]
	s_delay_alu instid0(SALU_CYCLE_1)
	s_mul_hi_u32 s17, s12, s15
	s_mul_i32 s16, s12, s15
	s_mul_hi_u32 s18, s12, s14
	s_mul_i32 s5, s13, s14
	s_add_nc_u64 s[16:17], s[18:19], s[16:17]
	s_mul_hi_u32 s2, s13, s14
	s_mul_hi_u32 s11, s13, s15
	s_add_co_u32 s5, s16, s5
	s_add_co_ci_u32 s18, s17, s2
	s_mul_i32 s14, s13, s15
	s_add_co_ci_u32 s15, s11, 0
	s_delay_alu instid0(SALU_CYCLE_1) | instskip(NEXT) | instid1(SALU_CYCLE_1)
	s_add_nc_u64 s[14:15], s[18:19], s[14:15]
	s_add_co_u32 s2, s12, s14
	s_cselect_b32 s5, -1, 0
	v_mul_hi_u32 v16, v8, s2
	s_cmp_lg_u32 s5, 0
	s_add_co_ci_u32 s18, s13, s15
	s_mov_b64 s[12:13], 0xffffffff
	v_mul_u64_e32 v[12:13], s[18:19], v[8:9]
	s_and_b64 s[12:13], s[2:3], s[12:13]
	v_mul_u64_e32 v[14:15], s[18:19], v[10:11]
	v_mul_u64_e32 v[6:7], s[12:13], v[10:11]
	s_delay_alu instid0(VALU_DEP_3) | instskip(NEXT) | instid1(VALU_DEP_1)
	v_add_nc_u64_e32 v[12:13], v[16:17], v[12:13]
	v_add_co_u32 v1, vcc_lo, v12, v6
	s_delay_alu instid0(VALU_DEP_2) | instskip(SKIP_1) | instid1(VALU_DEP_1)
	v_add_co_ci_u32_e32 v4, vcc_lo, v13, v7, vcc_lo
	v_add_co_ci_u32_e32 v15, vcc_lo, 0, v15, vcc_lo
	v_add_nc_u64_e32 v[4:5], v[4:5], v[14:15]
	s_delay_alu instid0(VALU_DEP_1) | instskip(NEXT) | instid1(VALU_DEP_1)
	v_mul_u64_e32 v[6:7], s[8:9], v[4:5]
	v_sub_nc_u32_e32 v1, v10, v7
	s_delay_alu instid0(VALU_DEP_2) | instskip(NEXT) | instid1(VALU_DEP_1)
	v_sub_co_u32 v6, vcc_lo, v8, v6
	v_sub_co_ci_u32_e64 v10, null, v10, v7, vcc_lo
	s_delay_alu instid0(VALU_DEP_3) | instskip(NEXT) | instid1(VALU_DEP_3)
	v_subrev_co_ci_u32_e64 v1, null, s9, v1, vcc_lo
	v_sub_co_u32 v8, s2, v6, s8
	s_delay_alu instid0(VALU_DEP_1) | instskip(NEXT) | instid1(VALU_DEP_2)
	v_subrev_co_ci_u32_e64 v1, null, 0, v1, s2
	v_cmp_le_u32_e32 vcc_lo, s8, v8
	v_cndmask_b32_e64 v7, 0, -1, vcc_lo
	s_delay_alu instid0(VALU_DEP_3)
	v_cmp_le_u32_e32 vcc_lo, s9, v1
	v_cndmask_b32_e64 v8, 0, -1, vcc_lo
	v_cmp_le_u32_e32 vcc_lo, s8, v6
	v_cndmask_b32_e64 v11, 0, -1, vcc_lo
	;; [unrolled: 2-line block ×3, first 2 shown]
	v_cmp_eq_u32_e32 vcc_lo, s9, v1
	v_cndmask_b32_e32 v1, v8, v7, vcc_lo
	v_cmp_eq_u32_e32 vcc_lo, s9, v10
	v_add_nc_u64_e32 v[6:7], 2, v[4:5]
	v_add_nc_u64_e32 v[8:9], 1, v[4:5]
	v_cndmask_b32_e32 v10, v12, v11, vcc_lo
	v_cmp_ne_u32_e32 vcc_lo, 0, v1
	s_delay_alu instid0(VALU_DEP_2) | instskip(NEXT) | instid1(VALU_DEP_4)
	v_cmp_ne_u32_e64 s2, 0, v10
	v_dual_cndmask_b32 v6, v8, v6 :: v_dual_cndmask_b32 v1, v9, v7
	s_delay_alu instid0(VALU_DEP_1) | instskip(SKIP_1) | instid1(VALU_DEP_2)
	v_dual_cndmask_b32 v4, v4, v6, s2 :: v_dual_cndmask_b32 v5, v5, v1, s2
	v_mov_b32_e32 v1, v0
	v_xor_b32_e32 v4, v4, v0
	s_delay_alu instid0(VALU_DEP_3) | instskip(NEXT) | instid1(VALU_DEP_1)
	v_xor_b32_e32 v5, v5, v0
	v_sub_nc_u64_e32 v[0:1], v[4:5], v[0:1]
.LBB7_3:
	s_and_not1_saveexec_b32 s2, s10
	s_cbranch_execz .LBB7_5
; %bb.4:
	v_cvt_f32_u32_e32 v0, s6
	s_sub_co_i32 s4, 0, s6
	s_delay_alu instid0(VALU_DEP_1) | instskip(SKIP_1) | instid1(TRANS32_DEP_1)
	v_rcp_iflag_f32_e32 v0, v0
	v_nop
	v_mul_f32_e32 v0, 0x4f7ffffe, v0
	s_delay_alu instid0(VALU_DEP_1) | instskip(NEXT) | instid1(VALU_DEP_1)
	v_cvt_u32_f32_e32 v0, v0
	v_mul_lo_u32 v1, s4, v0
	s_delay_alu instid0(VALU_DEP_1) | instskip(NEXT) | instid1(VALU_DEP_1)
	v_mul_hi_u32 v1, v0, v1
	v_add_nc_u32_e32 v0, v0, v1
	s_delay_alu instid0(VALU_DEP_1) | instskip(NEXT) | instid1(VALU_DEP_1)
	v_mul_hi_u32 v0, v2, v0
	v_mul_lo_u32 v1, v0, s6
	s_delay_alu instid0(VALU_DEP_1) | instskip(NEXT) | instid1(VALU_DEP_1)
	v_sub_nc_u32_e32 v1, v2, v1
	v_subrev_nc_u32_e32 v5, s6, v1
	v_cmp_le_u32_e32 vcc_lo, s6, v1
	s_delay_alu instid0(VALU_DEP_2) | instskip(NEXT) | instid1(VALU_DEP_1)
	v_dual_cndmask_b32 v1, v1, v5 :: v_dual_add_nc_u32 v4, 1, v0
	v_cndmask_b32_e32 v0, v0, v4, vcc_lo
	s_delay_alu instid0(VALU_DEP_2) | instskip(NEXT) | instid1(VALU_DEP_2)
	v_cmp_le_u32_e32 vcc_lo, s6, v1
	v_dual_mov_b32 v1, 0 :: v_dual_add_nc_u32 v4, 1, v0
	s_delay_alu instid0(VALU_DEP_1)
	v_cndmask_b32_e32 v0, v0, v4, vcc_lo
.LBB7_5:
	s_or_b32 exec_lo, exec_lo, s2
	s_delay_alu instid0(VALU_DEP_1)
	v_mul_u64_e32 v[4:5], s[6:7], v[0:1]
	s_load_b256 s[8:15], s[0:1], 0xb8
	v_ashrrev_i32_e32 v1, 31, v0
	s_bfe_u32 s2, ttmp6, 0x40010
	s_bfe_u32 s4, ttmp6, 0x40014
	s_and_b32 s6, ttmp7, 0xffff
	s_add_co_i32 s2, s2, 1
	s_lshr_b32 s7, ttmp7, 16
	s_add_co_i32 s4, s4, 1
	s_mul_i32 s2, s6, s2
	s_bfe_u32 s5, ttmp6, 0x40004
	s_mul_i32 s4, s7, s4
	s_delay_alu instid0(VALU_DEP_2) | instskip(SKIP_3) | instid1(VALU_DEP_2)
	v_sub_nc_u64_e32 v[2:3], v[2:3], v[4:5]
	s_wait_kmcnt 0x0
	v_mul_u64_e32 v[4:5], s[12:13], v[0:1]
	s_load_b64 s[12:13], s[0:1], 0x90
	v_mul_u64_e32 v[6:7], s[14:15], v[2:3]
	s_bfe_u32 s14, ttmp6, 0x40008
	s_add_co_i32 s15, s5, s2
	s_add_co_i32 s14, s14, s4
	s_cmp_eq_u32 s3, 0
	s_mov_b32 s5, 0
	s_cselect_b32 s4, s7, s14
	s_cselect_b32 s6, s6, s15
	s_mul_u64 s[2:3], s[8:9], s[4:5]
	s_mov_b32 s7, s5
	s_lshl_b64 s[2:3], s[2:3], 3
	s_mul_u64 s[8:9], s[10:11], s[6:7]
	s_mov_b32 s14, s5
	s_lshl_b64 s[8:9], s[8:9], 3
	s_wait_kmcnt 0x0
	s_add_nc_u64 s[2:3], s[12:13], s[2:3]
	s_delay_alu instid0(SALU_CYCLE_1)
	s_add_nc_u64 s[2:3], s[2:3], s[8:9]
	s_delay_alu instid0(VALU_DEP_2) | instid1(SALU_CYCLE_1)
	v_lshl_add_u64 v[4:5], v[4:5], 3, s[2:3]
	s_mov_b32 s2, exec_lo
	s_delay_alu instid0(VALU_DEP_1) | instskip(SKIP_3) | instid1(VALU_DEP_1)
	v_lshl_add_u64 v[4:5], v[6:7], 3, v[4:5]
	global_load_b64 v[10:11], v[4:5], off
	s_wait_loadcnt 0x0
	v_and_b32_e32 v4, 0x80000000, v10
	v_cmpx_ne_u32_e32 0, v4
	s_xor_b32 s2, exec_lo, s2
	s_cbranch_execnz .LBB7_14
; %bb.6:
	s_or_saveexec_b32 s15, s2
	s_mov_b32 s2, s5
                                        ; implicit-def: $vgpr6_vgpr7
                                        ; implicit-def: $vgpr8_vgpr9
                                        ; implicit-def: $vgpr4_vgpr5
	s_xor_b32 exec_lo, exec_lo, s15
	s_cbranch_execz .LBB7_15
.LBB7_7:
	s_load_b64 s[8:9], s[0:1], 0x20
	v_and_b32_e32 v4, 0x7fffffff, v10
	v_mov_b32_e32 v5, 0
	s_wait_kmcnt 0x0
	s_and_b64 s[2:3], s[8:9], 0xffffffff00000000
	s_delay_alu instid0(SALU_CYCLE_1)
	s_cmp_lg_u64 s[2:3], 0
	s_cbranch_scc0 .LBB7_13
; %bb.8:
	s_ashr_i32 s10, s9, 31
	v_add_nc_u64_e32 v[6:7], 0, v[4:5]
	s_mov_b32 s11, s10
	v_mov_b32_e32 v9, v5
	s_add_nc_u64 s[2:3], s[8:9], s[10:11]
	v_mov_b32_e32 v11, v5
	s_xor_b64 s[12:13], s[2:3], s[10:11]
	v_mov_b32_e32 v15, v5
	s_cvt_f32_u32 s2, s12
	s_cvt_f32_u32 s3, s13
	s_sub_nc_u64 s[18:19], 0, s[12:13]
	v_dual_mov_b32 v8, v6 :: v_dual_mov_b32 v10, v7
	s_delay_alu instid0(SALU_CYCLE_1) | instskip(NEXT) | instid1(SALU_CYCLE_3)
	s_fmamk_f32 s2, s3, 0x4f800000, s2
	v_s_rcp_f32 s2, s2
	s_delay_alu instid0(TRANS32_DEP_1) | instskip(NEXT) | instid1(SALU_CYCLE_3)
	s_mul_f32 s2, s2, 0x5f7ffffc
	s_mul_f32 s3, s2, 0x2f800000
	s_delay_alu instid0(SALU_CYCLE_3) | instskip(NEXT) | instid1(SALU_CYCLE_3)
	s_trunc_f32 s3, s3
	s_fmamk_f32 s2, s3, 0xcf800000, s2
	s_cvt_u32_f32 s17, s3
	s_mov_b32 s3, 0
	s_delay_alu instid0(SALU_CYCLE_1) | instskip(NEXT) | instid1(SALU_CYCLE_3)
	s_cvt_u32_f32 s16, s2
	s_mul_u64 s[20:21], s[18:19], s[16:17]
	s_delay_alu instid0(SALU_CYCLE_1)
	s_mul_hi_u32 s23, s16, s21
	s_mul_i32 s22, s16, s21
	s_mul_hi_u32 s2, s16, s20
	s_mul_i32 s24, s17, s20
	s_add_nc_u64 s[22:23], s[2:3], s[22:23]
	s_mul_hi_u32 s11, s17, s20
	s_mul_hi_u32 s25, s17, s21
	s_add_co_u32 s2, s22, s24
	s_add_co_ci_u32 s2, s23, s11
	s_mul_i32 s20, s17, s21
	s_add_co_ci_u32 s21, s25, 0
	s_delay_alu instid0(SALU_CYCLE_1) | instskip(NEXT) | instid1(SALU_CYCLE_1)
	s_add_nc_u64 s[20:21], s[2:3], s[20:21]
	s_add_co_u32 s16, s16, s20
	s_cselect_b32 s2, -1, 0
	s_delay_alu instid0(SALU_CYCLE_1) | instskip(SKIP_1) | instid1(SALU_CYCLE_1)
	s_cmp_lg_u32 s2, 0
	s_add_co_ci_u32 s17, s17, s21
	s_mul_u64 s[18:19], s[18:19], s[16:17]
	s_delay_alu instid0(SALU_CYCLE_1)
	s_mul_hi_u32 s21, s16, s19
	s_mul_i32 s20, s16, s19
	s_mul_hi_u32 s2, s16, s18
	s_mul_i32 s22, s17, s18
	s_add_nc_u64 s[20:21], s[2:3], s[20:21]
	s_mul_hi_u32 s11, s17, s18
	s_mul_hi_u32 s23, s17, s19
	s_add_co_u32 s2, s20, s22
	s_add_co_ci_u32 s2, s21, s11
	s_mul_i32 s18, s17, s19
	s_add_co_ci_u32 s19, s23, 0
	s_delay_alu instid0(SALU_CYCLE_1) | instskip(NEXT) | instid1(SALU_CYCLE_1)
	s_add_nc_u64 s[18:19], s[2:3], s[18:19]
	s_add_co_u32 s16, s16, s18
	s_cselect_b32 s2, -1, 0
	v_mul_hi_u32 v14, v6, s16
	s_cmp_lg_u32 s2, 0
	s_add_co_ci_u32 s2, s17, s19
	s_mov_b64 s[18:19], 0xffffffff
	v_mul_u64_e32 v[8:9], s[2:3], v[8:9]
	s_and_b64 s[18:19], s[16:17], s[18:19]
	s_delay_alu instid0(SALU_CYCLE_1) | instskip(SKIP_1) | instid1(VALU_DEP_3)
	v_mul_u64_e32 v[12:13], s[18:19], v[10:11]
	v_mul_u64_e32 v[10:11], s[2:3], v[10:11]
	v_add_nc_u64_e32 v[8:9], v[14:15], v[8:9]
	s_delay_alu instid0(VALU_DEP_1) | instskip(NEXT) | instid1(VALU_DEP_2)
	v_add_co_u32 v8, vcc_lo, v8, v12
	v_add_co_ci_u32_e32 v14, vcc_lo, v9, v13, vcc_lo
	s_delay_alu instid0(VALU_DEP_4) | instskip(NEXT) | instid1(VALU_DEP_1)
	v_add_co_ci_u32_e32 v11, vcc_lo, 0, v11, vcc_lo
	v_add_nc_u64_e32 v[8:9], v[14:15], v[10:11]
	s_delay_alu instid0(VALU_DEP_1) | instskip(NEXT) | instid1(VALU_DEP_1)
	v_mul_u64_e32 v[10:11], s[12:13], v[8:9]
	v_sub_nc_u32_e32 v12, v7, v11
	s_delay_alu instid0(VALU_DEP_2) | instskip(NEXT) | instid1(VALU_DEP_1)
	v_sub_co_u32 v6, vcc_lo, v6, v10
	v_sub_co_ci_u32_e64 v11, null, v7, v11, vcc_lo
	s_delay_alu instid0(VALU_DEP_3) | instskip(NEXT) | instid1(VALU_DEP_3)
	v_subrev_co_ci_u32_e64 v10, null, s13, v12, vcc_lo
	v_sub_co_u32 v14, s2, v6, s12
	v_cmp_le_u32_e32 vcc_lo, s12, v6
	s_delay_alu instid0(VALU_DEP_3) | instskip(NEXT) | instid1(VALU_DEP_3)
	v_subrev_co_ci_u32_e64 v10, null, 0, v10, s2
	v_cmp_le_u32_e64 s2, s12, v14
	v_add_nc_u64_e32 v[12:13], 2, v[8:9]
	v_cndmask_b32_e64 v16, 0, -1, vcc_lo
	s_delay_alu instid0(VALU_DEP_4) | instskip(SKIP_3) | instid1(VALU_DEP_1)
	v_cmp_eq_u32_e32 vcc_lo, s13, v10
	v_add_nc_u64_e32 v[6:7], 1, v[8:9]
	v_cndmask_b32_e64 v14, 0, -1, s2
	v_cmp_le_u32_e64 s2, s13, v10
	v_cndmask_b32_e64 v15, 0, -1, s2
	v_cmp_eq_u32_e64 s2, s13, v11
	s_delay_alu instid0(VALU_DEP_2) | instskip(SKIP_2) | instid1(VALU_DEP_3)
	v_cndmask_b32_e32 v10, v15, v14, vcc_lo
	v_cmp_le_u32_e32 vcc_lo, s13, v11
	v_cndmask_b32_e64 v14, 0, -1, vcc_lo
	v_cmp_ne_u32_e32 vcc_lo, 0, v10
	s_delay_alu instid0(VALU_DEP_2) | instskip(SKIP_1) | instid1(VALU_DEP_2)
	v_dual_cndmask_b32 v10, v14, v16, s2 :: v_dual_cndmask_b32 v7, v7, v13, vcc_lo
	v_cndmask_b32_e32 v6, v6, v12, vcc_lo
	v_cmp_ne_u32_e32 vcc_lo, 0, v10
	s_delay_alu instid0(VALU_DEP_2) | instskip(SKIP_1) | instid1(VALU_DEP_2)
	v_dual_cndmask_b32 v9, v9, v7 :: v_dual_cndmask_b32 v8, v8, v6
	v_dual_mov_b32 v7, s10 :: v_dual_mov_b32 v6, s10
	v_xor_b32_e32 v9, s10, v9
	s_delay_alu instid0(VALU_DEP_3) | instskip(NEXT) | instid1(VALU_DEP_1)
	v_xor_b32_e32 v8, s10, v8
	v_sub_nc_u64_e32 v[6:7], v[8:9], v[6:7]
	s_cbranch_execnz .LBB7_10
.LBB7_9:
	v_cvt_f32_u32_e32 v6, s8
	s_sub_co_i32 s2, 0, s8
	s_delay_alu instid0(VALU_DEP_1) | instskip(SKIP_1) | instid1(TRANS32_DEP_1)
	v_rcp_iflag_f32_e32 v6, v6
	v_nop
	v_mul_f32_e32 v6, 0x4f7ffffe, v6
	s_delay_alu instid0(VALU_DEP_1) | instskip(NEXT) | instid1(VALU_DEP_1)
	v_cvt_u32_f32_e32 v6, v6
	v_mul_lo_u32 v7, s2, v6
	s_delay_alu instid0(VALU_DEP_1) | instskip(NEXT) | instid1(VALU_DEP_1)
	v_mul_hi_u32 v7, v6, v7
	v_add_nc_u32_e32 v6, v6, v7
	s_delay_alu instid0(VALU_DEP_1) | instskip(NEXT) | instid1(VALU_DEP_1)
	v_mul_hi_u32 v6, v4, v6
	v_mul_lo_u32 v7, v6, s8
	s_delay_alu instid0(VALU_DEP_1) | instskip(NEXT) | instid1(VALU_DEP_1)
	v_dual_add_nc_u32 v8, 1, v6 :: v_dual_sub_nc_u32 v7, v4, v7
	v_subrev_nc_u32_e32 v9, s8, v7
	v_cmp_le_u32_e32 vcc_lo, s8, v7
	s_delay_alu instid0(VALU_DEP_2) | instskip(NEXT) | instid1(VALU_DEP_1)
	v_dual_cndmask_b32 v7, v7, v9 :: v_dual_cndmask_b32 v6, v6, v8
	v_cmp_le_u32_e32 vcc_lo, s8, v7
	s_delay_alu instid0(VALU_DEP_2) | instskip(NEXT) | instid1(VALU_DEP_1)
	v_dual_mov_b32 v7, 0 :: v_dual_add_nc_u32 v8, 1, v6
	v_cndmask_b32_e32 v6, v6, v8, vcc_lo
.LBB7_10:
	s_load_b64 s[2:3], s[0:1], 0x18
	s_wait_kmcnt 0x0
	s_delay_alu instid0(VALU_DEP_1)
	v_cmp_le_i64_e32 vcc_lo, s[2:3], v[6:7]
	s_mov_b32 s2, -1
	s_mov_b32 s3, s14
	s_and_saveexec_b32 s10, vcc_lo
	s_cbranch_execnz .LBB7_20
.LBB7_11:
	s_or_b32 exec_lo, exec_lo, s10
	v_mov_b64_e32 v[8:9], s[8:9]
	s_and_not1_b32 s8, s14, exec_lo
	s_and_b32 s3, s3, exec_lo
	s_and_b32 s2, s2, exec_lo
	s_or_b32 s14, s8, s3
	s_or_b32 exec_lo, exec_lo, s15
	s_and_saveexec_b32 s3, s14
	s_cbranch_execnz .LBB7_16
.LBB7_12:
	s_or_b32 exec_lo, exec_lo, s3
	s_delay_alu instid0(SALU_CYCLE_1)
	s_and_b32 exec_lo, exec_lo, s2
	s_cbranch_execnz .LBB7_17
	s_branch .LBB7_19
.LBB7_13:
                                        ; implicit-def: $vgpr6_vgpr7
	s_branch .LBB7_9
.LBB7_14:
	s_mov_b32 s14, exec_lo
	s_trap 2
                                        ; implicit-def: $vgpr10_vgpr11
	s_or_saveexec_b32 s15, s2
	s_mov_b32 s2, s5
                                        ; implicit-def: $vgpr6_vgpr7
                                        ; implicit-def: $vgpr8_vgpr9
                                        ; implicit-def: $vgpr4_vgpr5
	s_xor_b32 exec_lo, exec_lo, s15
	s_cbranch_execnz .LBB7_7
.LBB7_15:
	s_or_b32 exec_lo, exec_lo, s15
	s_and_saveexec_b32 s3, s14
	s_cbranch_execz .LBB7_12
.LBB7_16:
	; divergent unreachable
	s_or_b32 exec_lo, exec_lo, s3
	s_delay_alu instid0(SALU_CYCLE_1)
	s_and_b32 exec_lo, exec_lo, s2
	s_cbranch_execz .LBB7_19
.LBB7_17:
	v_mul_u64_e32 v[8:9], v[6:7], v[8:9]
	s_clause 0x2
	s_load_b256 s[8:15], s[0:1], 0x28
	s_load_b256 s[16:23], s[0:1], 0x70
	s_load_b64 s[2:3], s[0:1], 0x0
	s_wait_kmcnt 0x0
	v_mul_u64_e32 v[6:7], s[12:13], v[6:7]
	v_mul_u64_e32 v[0:1], s[20:21], v[0:1]
	v_mul_u64_e32 v[2:3], s[22:23], v[2:3]
	s_mul_u64 s[8:9], s[8:9], s[4:5]
	s_load_b64 s[0:1], s[0:1], 0x48
	s_mul_u64 s[10:11], s[10:11], s[6:7]
	s_lshl_b64 s[8:9], s[8:9], 1
	s_lshl_b64 s[10:11], s[10:11], 1
	s_add_nc_u64 s[2:3], s[2:3], s[8:9]
	s_delay_alu instid0(SALU_CYCLE_1) | instskip(NEXT) | instid1(VALU_DEP_4)
	s_add_nc_u64 s[2:3], s[2:3], s[10:11]
	v_sub_nc_u64_e32 v[4:5], v[4:5], v[8:9]
	s_delay_alu instid0(VALU_DEP_1)
	v_mul_u64_e32 v[4:5], s[14:15], v[4:5]
	v_lshl_add_u64 v[6:7], v[6:7], 1, s[2:3]
	s_mul_u64 s[2:3], s[16:17], s[4:5]
	s_mul_u64 s[4:5], s[18:19], s[6:7]
	s_lshl_b64 s[2:3], s[2:3], 1
	s_lshl_b64 s[4:5], s[4:5], 1
	s_wait_kmcnt 0x0
	s_add_nc_u64 s[0:1], s[0:1], s[2:3]
	s_delay_alu instid0(SALU_CYCLE_1) | instskip(NEXT) | instid1(SALU_CYCLE_1)
	s_add_nc_u64 s[0:1], s[0:1], s[4:5]
	v_lshl_add_u64 v[0:1], v[0:1], 1, s[0:1]
	s_mov_b32 s1, 0
	s_delay_alu instid0(VALU_DEP_1) | instskip(NEXT) | instid1(VALU_DEP_4)
	v_lshl_add_u64 v[10:11], v[2:3], 1, v[0:1]
	v_lshl_add_u64 v[4:5], v[4:5], 1, v[6:7]
	s_delay_alu instid0(VALU_DEP_1) | instskip(NEXT) | instid1(VALU_DEP_1)
	v_dual_mov_b32 v7, 0 :: v_dual_bitop2_b32 v6, 2, v4 bitop3:0x40
	v_sub_nc_u64_e32 v[8:9], 0, v[6:7]
	v_cmp_eq_u64_e32 vcc_lo, 0, v[6:7]
	s_delay_alu instid0(VALU_DEP_2)
	v_add_nc_u64_e32 v[0:1], v[4:5], v[8:9]
	global_load_u16 v2, v[10:11], off
	global_load_b32 v3, v[0:1], off
	s_wait_loadcnt 0x1
	v_lshlrev_b32_e32 v4, 16, v2
.LBB7_18:                               ; =>This Inner Loop Header: Depth=1
	s_wait_loadcnt 0x0
	v_lshrrev_b32_e32 v2, 16, v3
	v_and_b32_e32 v5, 0xffff, v3
	s_delay_alu instid0(VALU_DEP_1) | instskip(NEXT) | instid1(VALU_DEP_1)
	v_cndmask_b32_e32 v2, v2, v5, vcc_lo
	v_lshlrev_b32_e32 v2, 16, v2
	s_delay_alu instid0(VALU_DEP_1) | instskip(NEXT) | instid1(VALU_DEP_1)
	v_add_f32_e32 v2, v4, v2
	v_bfe_u32 v6, v2, 16, 1
	v_cmp_o_f32_e64 s0, v2, v2
	s_delay_alu instid0(VALU_DEP_2) | instskip(NEXT) | instid1(VALU_DEP_1)
	v_add3_u32 v6, v2, v6, 0x7fff
	v_lshrrev_b32_e32 v6, 16, v6
	s_delay_alu instid0(VALU_DEP_1) | instskip(NEXT) | instid1(VALU_DEP_1)
	v_cndmask_b32_e64 v2, 0x7fc0, v6, s0
	v_lshl_or_b32 v5, v2, 16, v5
	v_and_or_b32 v2, 0xffff0000, v3, v2
	s_delay_alu instid0(VALU_DEP_1)
	v_cndmask_b32_e32 v2, v5, v2, vcc_lo
	global_atomic_cmpswap_b32 v2, v[0:1], v[2:3], off th:TH_ATOMIC_RETURN scope:SCOPE_DEV
	s_wait_loadcnt 0x0
	v_cmp_eq_u32_e64 s0, v3, v2
	v_mov_b32_e32 v3, v2
	s_or_b32 s1, s0, s1
	s_delay_alu instid0(SALU_CYCLE_1)
	s_and_not1_b32 exec_lo, exec_lo, s1
	s_cbranch_execnz .LBB7_18
.LBB7_19:
	s_endpgm
.LBB7_20:
	s_xor_b32 s2, exec_lo, -1
	s_or_b32 s3, s14, exec_lo
	s_trap 2
	s_branch .LBB7_11
	.section	.rodata,"a",@progbits
	.p2align	6, 0x0
	.amdhsa_kernel _ZN2at6native12_GLOBAL__N_145fractional_max_pool2d_backward_out_cuda_frameIN3c108BFloat16EEEvN5torch10headeronly6detail27GenericPackedTensorAccessorINS7_14TensorAccessorINS3_8ArrayRefIlEET_Lm3ENS6_16DefaultPtrTraitsElEENS_6detail16IndexBoundsCheckILm4ElEESC_Lm4ESD_lEENS8_INS9_ISB_KSC_Lm3ESD_lEESH_SJ_Lm4ESD_lEENS8_INS9_ISB_KlLm3ESD_lEESH_SM_Lm4ESD_lEE
		.amdhsa_group_segment_fixed_size 0
		.amdhsa_private_segment_fixed_size 0
		.amdhsa_kernarg_size 472
		.amdhsa_user_sgpr_count 2
		.amdhsa_user_sgpr_dispatch_ptr 0
		.amdhsa_user_sgpr_queue_ptr 0
		.amdhsa_user_sgpr_kernarg_segment_ptr 1
		.amdhsa_user_sgpr_dispatch_id 0
		.amdhsa_user_sgpr_kernarg_preload_length 0
		.amdhsa_user_sgpr_kernarg_preload_offset 0
		.amdhsa_user_sgpr_private_segment_size 0
		.amdhsa_wavefront_size32 1
		.amdhsa_uses_dynamic_stack 0
		.amdhsa_enable_private_segment 0
		.amdhsa_system_sgpr_workgroup_id_x 1
		.amdhsa_system_sgpr_workgroup_id_y 1
		.amdhsa_system_sgpr_workgroup_id_z 1
		.amdhsa_system_sgpr_workgroup_info 0
		.amdhsa_system_vgpr_workitem_id 0
		.amdhsa_next_free_vgpr 18
		.amdhsa_next_free_sgpr 26
		.amdhsa_named_barrier_count 0
		.amdhsa_reserve_vcc 1
		.amdhsa_float_round_mode_32 0
		.amdhsa_float_round_mode_16_64 0
		.amdhsa_float_denorm_mode_32 3
		.amdhsa_float_denorm_mode_16_64 3
		.amdhsa_fp16_overflow 0
		.amdhsa_memory_ordered 1
		.amdhsa_forward_progress 1
		.amdhsa_inst_pref_size 19
		.amdhsa_round_robin_scheduling 0
		.amdhsa_exception_fp_ieee_invalid_op 0
		.amdhsa_exception_fp_denorm_src 0
		.amdhsa_exception_fp_ieee_div_zero 0
		.amdhsa_exception_fp_ieee_overflow 0
		.amdhsa_exception_fp_ieee_underflow 0
		.amdhsa_exception_fp_ieee_inexact 0
		.amdhsa_exception_int_div_zero 0
	.end_amdhsa_kernel
	.section	.text._ZN2at6native12_GLOBAL__N_145fractional_max_pool2d_backward_out_cuda_frameIN3c108BFloat16EEEvN5torch10headeronly6detail27GenericPackedTensorAccessorINS7_14TensorAccessorINS3_8ArrayRefIlEET_Lm3ENS6_16DefaultPtrTraitsElEENS_6detail16IndexBoundsCheckILm4ElEESC_Lm4ESD_lEENS8_INS9_ISB_KSC_Lm3ESD_lEESH_SJ_Lm4ESD_lEENS8_INS9_ISB_KlLm3ESD_lEESH_SM_Lm4ESD_lEE,"axG",@progbits,_ZN2at6native12_GLOBAL__N_145fractional_max_pool2d_backward_out_cuda_frameIN3c108BFloat16EEEvN5torch10headeronly6detail27GenericPackedTensorAccessorINS7_14TensorAccessorINS3_8ArrayRefIlEET_Lm3ENS6_16DefaultPtrTraitsElEENS_6detail16IndexBoundsCheckILm4ElEESC_Lm4ESD_lEENS8_INS9_ISB_KSC_Lm3ESD_lEESH_SJ_Lm4ESD_lEENS8_INS9_ISB_KlLm3ESD_lEESH_SM_Lm4ESD_lEE,comdat
.Lfunc_end7:
	.size	_ZN2at6native12_GLOBAL__N_145fractional_max_pool2d_backward_out_cuda_frameIN3c108BFloat16EEEvN5torch10headeronly6detail27GenericPackedTensorAccessorINS7_14TensorAccessorINS3_8ArrayRefIlEET_Lm3ENS6_16DefaultPtrTraitsElEENS_6detail16IndexBoundsCheckILm4ElEESC_Lm4ESD_lEENS8_INS9_ISB_KSC_Lm3ESD_lEESH_SJ_Lm4ESD_lEENS8_INS9_ISB_KlLm3ESD_lEESH_SM_Lm4ESD_lEE, .Lfunc_end7-_ZN2at6native12_GLOBAL__N_145fractional_max_pool2d_backward_out_cuda_frameIN3c108BFloat16EEEvN5torch10headeronly6detail27GenericPackedTensorAccessorINS7_14TensorAccessorINS3_8ArrayRefIlEET_Lm3ENS6_16DefaultPtrTraitsElEENS_6detail16IndexBoundsCheckILm4ElEESC_Lm4ESD_lEENS8_INS9_ISB_KSC_Lm3ESD_lEESH_SJ_Lm4ESD_lEENS8_INS9_ISB_KlLm3ESD_lEESH_SM_Lm4ESD_lEE
                                        ; -- End function
	.set _ZN2at6native12_GLOBAL__N_145fractional_max_pool2d_backward_out_cuda_frameIN3c108BFloat16EEEvN5torch10headeronly6detail27GenericPackedTensorAccessorINS7_14TensorAccessorINS3_8ArrayRefIlEET_Lm3ENS6_16DefaultPtrTraitsElEENS_6detail16IndexBoundsCheckILm4ElEESC_Lm4ESD_lEENS8_INS9_ISB_KSC_Lm3ESD_lEESH_SJ_Lm4ESD_lEENS8_INS9_ISB_KlLm3ESD_lEESH_SM_Lm4ESD_lEE.num_vgpr, 18
	.set _ZN2at6native12_GLOBAL__N_145fractional_max_pool2d_backward_out_cuda_frameIN3c108BFloat16EEEvN5torch10headeronly6detail27GenericPackedTensorAccessorINS7_14TensorAccessorINS3_8ArrayRefIlEET_Lm3ENS6_16DefaultPtrTraitsElEENS_6detail16IndexBoundsCheckILm4ElEESC_Lm4ESD_lEENS8_INS9_ISB_KSC_Lm3ESD_lEESH_SJ_Lm4ESD_lEENS8_INS9_ISB_KlLm3ESD_lEESH_SM_Lm4ESD_lEE.num_agpr, 0
	.set _ZN2at6native12_GLOBAL__N_145fractional_max_pool2d_backward_out_cuda_frameIN3c108BFloat16EEEvN5torch10headeronly6detail27GenericPackedTensorAccessorINS7_14TensorAccessorINS3_8ArrayRefIlEET_Lm3ENS6_16DefaultPtrTraitsElEENS_6detail16IndexBoundsCheckILm4ElEESC_Lm4ESD_lEENS8_INS9_ISB_KSC_Lm3ESD_lEESH_SJ_Lm4ESD_lEENS8_INS9_ISB_KlLm3ESD_lEESH_SM_Lm4ESD_lEE.numbered_sgpr, 26
	.set _ZN2at6native12_GLOBAL__N_145fractional_max_pool2d_backward_out_cuda_frameIN3c108BFloat16EEEvN5torch10headeronly6detail27GenericPackedTensorAccessorINS7_14TensorAccessorINS3_8ArrayRefIlEET_Lm3ENS6_16DefaultPtrTraitsElEENS_6detail16IndexBoundsCheckILm4ElEESC_Lm4ESD_lEENS8_INS9_ISB_KSC_Lm3ESD_lEESH_SJ_Lm4ESD_lEENS8_INS9_ISB_KlLm3ESD_lEESH_SM_Lm4ESD_lEE.num_named_barrier, 0
	.set _ZN2at6native12_GLOBAL__N_145fractional_max_pool2d_backward_out_cuda_frameIN3c108BFloat16EEEvN5torch10headeronly6detail27GenericPackedTensorAccessorINS7_14TensorAccessorINS3_8ArrayRefIlEET_Lm3ENS6_16DefaultPtrTraitsElEENS_6detail16IndexBoundsCheckILm4ElEESC_Lm4ESD_lEENS8_INS9_ISB_KSC_Lm3ESD_lEESH_SJ_Lm4ESD_lEENS8_INS9_ISB_KlLm3ESD_lEESH_SM_Lm4ESD_lEE.private_seg_size, 0
	.set _ZN2at6native12_GLOBAL__N_145fractional_max_pool2d_backward_out_cuda_frameIN3c108BFloat16EEEvN5torch10headeronly6detail27GenericPackedTensorAccessorINS7_14TensorAccessorINS3_8ArrayRefIlEET_Lm3ENS6_16DefaultPtrTraitsElEENS_6detail16IndexBoundsCheckILm4ElEESC_Lm4ESD_lEENS8_INS9_ISB_KSC_Lm3ESD_lEESH_SJ_Lm4ESD_lEENS8_INS9_ISB_KlLm3ESD_lEESH_SM_Lm4ESD_lEE.uses_vcc, 1
	.set _ZN2at6native12_GLOBAL__N_145fractional_max_pool2d_backward_out_cuda_frameIN3c108BFloat16EEEvN5torch10headeronly6detail27GenericPackedTensorAccessorINS7_14TensorAccessorINS3_8ArrayRefIlEET_Lm3ENS6_16DefaultPtrTraitsElEENS_6detail16IndexBoundsCheckILm4ElEESC_Lm4ESD_lEENS8_INS9_ISB_KSC_Lm3ESD_lEESH_SJ_Lm4ESD_lEENS8_INS9_ISB_KlLm3ESD_lEESH_SM_Lm4ESD_lEE.uses_flat_scratch, 0
	.set _ZN2at6native12_GLOBAL__N_145fractional_max_pool2d_backward_out_cuda_frameIN3c108BFloat16EEEvN5torch10headeronly6detail27GenericPackedTensorAccessorINS7_14TensorAccessorINS3_8ArrayRefIlEET_Lm3ENS6_16DefaultPtrTraitsElEENS_6detail16IndexBoundsCheckILm4ElEESC_Lm4ESD_lEENS8_INS9_ISB_KSC_Lm3ESD_lEESH_SJ_Lm4ESD_lEENS8_INS9_ISB_KlLm3ESD_lEESH_SM_Lm4ESD_lEE.has_dyn_sized_stack, 0
	.set _ZN2at6native12_GLOBAL__N_145fractional_max_pool2d_backward_out_cuda_frameIN3c108BFloat16EEEvN5torch10headeronly6detail27GenericPackedTensorAccessorINS7_14TensorAccessorINS3_8ArrayRefIlEET_Lm3ENS6_16DefaultPtrTraitsElEENS_6detail16IndexBoundsCheckILm4ElEESC_Lm4ESD_lEENS8_INS9_ISB_KSC_Lm3ESD_lEESH_SJ_Lm4ESD_lEENS8_INS9_ISB_KlLm3ESD_lEESH_SM_Lm4ESD_lEE.has_recursion, 0
	.set _ZN2at6native12_GLOBAL__N_145fractional_max_pool2d_backward_out_cuda_frameIN3c108BFloat16EEEvN5torch10headeronly6detail27GenericPackedTensorAccessorINS7_14TensorAccessorINS3_8ArrayRefIlEET_Lm3ENS6_16DefaultPtrTraitsElEENS_6detail16IndexBoundsCheckILm4ElEESC_Lm4ESD_lEENS8_INS9_ISB_KSC_Lm3ESD_lEESH_SJ_Lm4ESD_lEENS8_INS9_ISB_KlLm3ESD_lEESH_SM_Lm4ESD_lEE.has_indirect_call, 0
	.section	.AMDGPU.csdata,"",@progbits
; Kernel info:
; codeLenInByte = 2424
; TotalNumSgprs: 28
; NumVgprs: 18
; ScratchSize: 0
; MemoryBound: 0
; FloatMode: 240
; IeeeMode: 1
; LDSByteSize: 0 bytes/workgroup (compile time only)
; SGPRBlocks: 0
; VGPRBlocks: 1
; NumSGPRsForWavesPerEU: 28
; NumVGPRsForWavesPerEU: 18
; NamedBarCnt: 0
; Occupancy: 16
; WaveLimiterHint : 1
; COMPUTE_PGM_RSRC2:SCRATCH_EN: 0
; COMPUTE_PGM_RSRC2:USER_SGPR: 2
; COMPUTE_PGM_RSRC2:TRAP_HANDLER: 0
; COMPUTE_PGM_RSRC2:TGID_X_EN: 1
; COMPUTE_PGM_RSRC2:TGID_Y_EN: 1
; COMPUTE_PGM_RSRC2:TGID_Z_EN: 1
; COMPUTE_PGM_RSRC2:TIDIG_COMP_CNT: 0
	.section	.AMDGPU.gpr_maximums,"",@progbits
	.set amdgpu.max_num_vgpr, 0
	.set amdgpu.max_num_agpr, 0
	.set amdgpu.max_num_sgpr, 0
	.section	.AMDGPU.csdata,"",@progbits
	.type	__hip_cuid_521df40afc2e8f2f,@object ; @__hip_cuid_521df40afc2e8f2f
	.section	.bss,"aw",@nobits
	.globl	__hip_cuid_521df40afc2e8f2f
__hip_cuid_521df40afc2e8f2f:
	.byte	0                               ; 0x0
	.size	__hip_cuid_521df40afc2e8f2f, 1

	.ident	"AMD clang version 22.0.0git (https://github.com/RadeonOpenCompute/llvm-project roc-7.2.4 26084 f58b06dce1f9c15707c5f808fd002e18c2accf7e)"
	.section	".note.GNU-stack","",@progbits
	.addrsig
	.addrsig_sym __hip_cuid_521df40afc2e8f2f
	.amdgpu_metadata
---
amdhsa.kernels:
  - .args:
      - .offset:         0
        .size:           72
        .value_kind:     by_value
      - .offset:         72
        .size:           72
        .value_kind:     by_value
      - .offset:         144
        .size:           72
        .value_kind:     by_value
      - .offset:         216
        .size:           56
        .value_kind:     by_value
      - .offset:         272
        .size:           4
        .value_kind:     by_value
      - .offset:         276
        .size:           4
        .value_kind:     by_value
      - .offset:         280
        .size:           4
        .value_kind:     hidden_block_count_x
      - .offset:         284
        .size:           4
        .value_kind:     hidden_block_count_y
      - .offset:         288
        .size:           4
        .value_kind:     hidden_block_count_z
      - .offset:         292
        .size:           2
        .value_kind:     hidden_group_size_x
      - .offset:         294
        .size:           2
        .value_kind:     hidden_group_size_y
      - .offset:         296
        .size:           2
        .value_kind:     hidden_group_size_z
      - .offset:         298
        .size:           2
        .value_kind:     hidden_remainder_x
      - .offset:         300
        .size:           2
        .value_kind:     hidden_remainder_y
      - .offset:         302
        .size:           2
        .value_kind:     hidden_remainder_z
      - .offset:         320
        .size:           8
        .value_kind:     hidden_global_offset_x
      - .offset:         328
        .size:           8
        .value_kind:     hidden_global_offset_y
      - .offset:         336
        .size:           8
        .value_kind:     hidden_global_offset_z
      - .offset:         344
        .size:           2
        .value_kind:     hidden_grid_dims
    .group_segment_fixed_size: 0
    .kernarg_segment_align: 8
    .kernarg_segment_size: 536
    .language:       OpenCL C
    .language_version:
      - 2
      - 0
    .max_flat_workgroup_size: 1024
    .name:           _ZN2at6native12_GLOBAL__N_136fractional_max_pool2d_out_cuda_frameIdEEvN5torch10headeronly6detail27GenericPackedTensorAccessorINS5_14TensorAccessorIN3c108ArrayRefIlEET_Lm3ENS4_16DefaultPtrTraitsElEENS_6detail16IndexBoundsCheckILm4ElEESB_Lm4ESC_lEENS6_INS7_ISA_lLm3ESC_lEESG_lLm4ESC_lEENS6_INS7_ISA_KSB_Lm3ESC_lEESG_SK_Lm4ESC_lEENS6_INS7_ISA_SK_Lm2ESC_lEENSF_ILm3ElEESK_Lm3ESC_lEEii
    .private_segment_fixed_size: 0
    .sgpr_count:     26
    .sgpr_spill_count: 0
    .symbol:         _ZN2at6native12_GLOBAL__N_136fractional_max_pool2d_out_cuda_frameIdEEvN5torch10headeronly6detail27GenericPackedTensorAccessorINS5_14TensorAccessorIN3c108ArrayRefIlEET_Lm3ENS4_16DefaultPtrTraitsElEENS_6detail16IndexBoundsCheckILm4ElEESB_Lm4ESC_lEENS6_INS7_ISA_lLm3ESC_lEESG_lLm4ESC_lEENS6_INS7_ISA_KSB_Lm3ESC_lEESG_SK_Lm4ESC_lEENS6_INS7_ISA_SK_Lm2ESC_lEENSF_ILm3ElEESK_Lm3ESC_lEEii.kd
    .uniform_work_group_size: 1
    .uses_dynamic_stack: false
    .vgpr_count:     24
    .vgpr_spill_count: 0
    .wavefront_size: 32
  - .args:
      - .offset:         0
        .size:           72
        .value_kind:     by_value
      - .offset:         72
        .size:           72
        .value_kind:     by_value
      - .offset:         144
        .size:           72
        .value_kind:     by_value
      - .offset:         216
        .size:           56
        .value_kind:     by_value
      - .offset:         272
        .size:           4
        .value_kind:     by_value
      - .offset:         276
        .size:           4
        .value_kind:     by_value
      - .offset:         280
        .size:           4
        .value_kind:     hidden_block_count_x
      - .offset:         284
        .size:           4
        .value_kind:     hidden_block_count_y
      - .offset:         288
        .size:           4
        .value_kind:     hidden_block_count_z
      - .offset:         292
        .size:           2
        .value_kind:     hidden_group_size_x
      - .offset:         294
        .size:           2
        .value_kind:     hidden_group_size_y
      - .offset:         296
        .size:           2
        .value_kind:     hidden_group_size_z
      - .offset:         298
        .size:           2
        .value_kind:     hidden_remainder_x
      - .offset:         300
        .size:           2
        .value_kind:     hidden_remainder_y
      - .offset:         302
        .size:           2
        .value_kind:     hidden_remainder_z
      - .offset:         320
        .size:           8
        .value_kind:     hidden_global_offset_x
      - .offset:         328
        .size:           8
        .value_kind:     hidden_global_offset_y
      - .offset:         336
        .size:           8
        .value_kind:     hidden_global_offset_z
      - .offset:         344
        .size:           2
        .value_kind:     hidden_grid_dims
    .group_segment_fixed_size: 0
    .kernarg_segment_align: 8
    .kernarg_segment_size: 536
    .language:       OpenCL C
    .language_version:
      - 2
      - 0
    .max_flat_workgroup_size: 1024
    .name:           _ZN2at6native12_GLOBAL__N_136fractional_max_pool2d_out_cuda_frameIfEEvN5torch10headeronly6detail27GenericPackedTensorAccessorINS5_14TensorAccessorIN3c108ArrayRefIlEET_Lm3ENS4_16DefaultPtrTraitsElEENS_6detail16IndexBoundsCheckILm4ElEESB_Lm4ESC_lEENS6_INS7_ISA_lLm3ESC_lEESG_lLm4ESC_lEENS6_INS7_ISA_KSB_Lm3ESC_lEESG_SK_Lm4ESC_lEENS6_INS7_ISA_SK_Lm2ESC_lEENSF_ILm3ElEESK_Lm3ESC_lEEii
    .private_segment_fixed_size: 0
    .sgpr_count:     26
    .sgpr_spill_count: 0
    .symbol:         _ZN2at6native12_GLOBAL__N_136fractional_max_pool2d_out_cuda_frameIfEEvN5torch10headeronly6detail27GenericPackedTensorAccessorINS5_14TensorAccessorIN3c108ArrayRefIlEET_Lm3ENS4_16DefaultPtrTraitsElEENS_6detail16IndexBoundsCheckILm4ElEESB_Lm4ESC_lEENS6_INS7_ISA_lLm3ESC_lEESG_lLm4ESC_lEENS6_INS7_ISA_KSB_Lm3ESC_lEESG_SK_Lm4ESC_lEENS6_INS7_ISA_SK_Lm2ESC_lEENSF_ILm3ElEESK_Lm3ESC_lEEii.kd
    .uniform_work_group_size: 1
    .uses_dynamic_stack: false
    .vgpr_count:     20
    .vgpr_spill_count: 0
    .wavefront_size: 32
  - .args:
      - .offset:         0
        .size:           72
        .value_kind:     by_value
      - .offset:         72
        .size:           72
        .value_kind:     by_value
      - .offset:         144
        .size:           72
        .value_kind:     by_value
      - .offset:         216
        .size:           56
        .value_kind:     by_value
      - .offset:         272
        .size:           4
        .value_kind:     by_value
      - .offset:         276
        .size:           4
        .value_kind:     by_value
      - .offset:         280
        .size:           4
        .value_kind:     hidden_block_count_x
      - .offset:         284
        .size:           4
        .value_kind:     hidden_block_count_y
      - .offset:         288
        .size:           4
        .value_kind:     hidden_block_count_z
      - .offset:         292
        .size:           2
        .value_kind:     hidden_group_size_x
      - .offset:         294
        .size:           2
        .value_kind:     hidden_group_size_y
      - .offset:         296
        .size:           2
        .value_kind:     hidden_group_size_z
      - .offset:         298
        .size:           2
        .value_kind:     hidden_remainder_x
      - .offset:         300
        .size:           2
        .value_kind:     hidden_remainder_y
      - .offset:         302
        .size:           2
        .value_kind:     hidden_remainder_z
      - .offset:         320
        .size:           8
        .value_kind:     hidden_global_offset_x
      - .offset:         328
        .size:           8
        .value_kind:     hidden_global_offset_y
      - .offset:         336
        .size:           8
        .value_kind:     hidden_global_offset_z
      - .offset:         344
        .size:           2
        .value_kind:     hidden_grid_dims
    .group_segment_fixed_size: 0
    .kernarg_segment_align: 8
    .kernarg_segment_size: 536
    .language:       OpenCL C
    .language_version:
      - 2
      - 0
    .max_flat_workgroup_size: 1024
    .name:           _ZN2at6native12_GLOBAL__N_136fractional_max_pool2d_out_cuda_frameIN3c104HalfEEEvN5torch10headeronly6detail27GenericPackedTensorAccessorINS7_14TensorAccessorINS3_8ArrayRefIlEET_Lm3ENS6_16DefaultPtrTraitsElEENS_6detail16IndexBoundsCheckILm4ElEESC_Lm4ESD_lEENS8_INS9_ISB_lLm3ESD_lEESH_lLm4ESD_lEENS8_INS9_ISB_KSC_Lm3ESD_lEESH_SL_Lm4ESD_lEENS8_INS9_ISB_SL_Lm2ESD_lEENSG_ILm3ElEESL_Lm3ESD_lEEii
    .private_segment_fixed_size: 0
    .sgpr_count:     26
    .sgpr_spill_count: 0
    .symbol:         _ZN2at6native12_GLOBAL__N_136fractional_max_pool2d_out_cuda_frameIN3c104HalfEEEvN5torch10headeronly6detail27GenericPackedTensorAccessorINS7_14TensorAccessorINS3_8ArrayRefIlEET_Lm3ENS6_16DefaultPtrTraitsElEENS_6detail16IndexBoundsCheckILm4ElEESC_Lm4ESD_lEENS8_INS9_ISB_lLm3ESD_lEESH_lLm4ESD_lEENS8_INS9_ISB_KSC_Lm3ESD_lEESH_SL_Lm4ESD_lEENS8_INS9_ISB_SL_Lm2ESD_lEENSG_ILm3ElEESL_Lm3ESD_lEEii.kd
    .uniform_work_group_size: 1
    .uses_dynamic_stack: false
    .vgpr_count:     20
    .vgpr_spill_count: 0
    .wavefront_size: 32
  - .args:
      - .offset:         0
        .size:           72
        .value_kind:     by_value
      - .offset:         72
        .size:           72
        .value_kind:     by_value
      - .offset:         144
        .size:           72
        .value_kind:     by_value
      - .offset:         216
        .size:           56
        .value_kind:     by_value
      - .offset:         272
        .size:           4
        .value_kind:     by_value
      - .offset:         276
        .size:           4
        .value_kind:     by_value
      - .offset:         280
        .size:           4
        .value_kind:     hidden_block_count_x
      - .offset:         284
        .size:           4
        .value_kind:     hidden_block_count_y
      - .offset:         288
        .size:           4
        .value_kind:     hidden_block_count_z
      - .offset:         292
        .size:           2
        .value_kind:     hidden_group_size_x
      - .offset:         294
        .size:           2
        .value_kind:     hidden_group_size_y
      - .offset:         296
        .size:           2
        .value_kind:     hidden_group_size_z
      - .offset:         298
        .size:           2
        .value_kind:     hidden_remainder_x
      - .offset:         300
        .size:           2
        .value_kind:     hidden_remainder_y
      - .offset:         302
        .size:           2
        .value_kind:     hidden_remainder_z
      - .offset:         320
        .size:           8
        .value_kind:     hidden_global_offset_x
      - .offset:         328
        .size:           8
        .value_kind:     hidden_global_offset_y
      - .offset:         336
        .size:           8
        .value_kind:     hidden_global_offset_z
      - .offset:         344
        .size:           2
        .value_kind:     hidden_grid_dims
    .group_segment_fixed_size: 0
    .kernarg_segment_align: 8
    .kernarg_segment_size: 536
    .language:       OpenCL C
    .language_version:
      - 2
      - 0
    .max_flat_workgroup_size: 1024
    .name:           _ZN2at6native12_GLOBAL__N_136fractional_max_pool2d_out_cuda_frameIN3c108BFloat16EEEvN5torch10headeronly6detail27GenericPackedTensorAccessorINS7_14TensorAccessorINS3_8ArrayRefIlEET_Lm3ENS6_16DefaultPtrTraitsElEENS_6detail16IndexBoundsCheckILm4ElEESC_Lm4ESD_lEENS8_INS9_ISB_lLm3ESD_lEESH_lLm4ESD_lEENS8_INS9_ISB_KSC_Lm3ESD_lEESH_SL_Lm4ESD_lEENS8_INS9_ISB_SL_Lm2ESD_lEENSG_ILm3ElEESL_Lm3ESD_lEEii
    .private_segment_fixed_size: 0
    .sgpr_count:     26
    .sgpr_spill_count: 0
    .symbol:         _ZN2at6native12_GLOBAL__N_136fractional_max_pool2d_out_cuda_frameIN3c108BFloat16EEEvN5torch10headeronly6detail27GenericPackedTensorAccessorINS7_14TensorAccessorINS3_8ArrayRefIlEET_Lm3ENS6_16DefaultPtrTraitsElEENS_6detail16IndexBoundsCheckILm4ElEESC_Lm4ESD_lEENS8_INS9_ISB_lLm3ESD_lEESH_lLm4ESD_lEENS8_INS9_ISB_KSC_Lm3ESD_lEESH_SL_Lm4ESD_lEENS8_INS9_ISB_SL_Lm2ESD_lEENSG_ILm3ElEESL_Lm3ESD_lEEii.kd
    .uniform_work_group_size: 1
    .uses_dynamic_stack: false
    .vgpr_count:     22
    .vgpr_spill_count: 0
    .wavefront_size: 32
  - .args:
      - .offset:         0
        .size:           72
        .value_kind:     by_value
      - .offset:         72
        .size:           72
        .value_kind:     by_value
      - .offset:         144
        .size:           72
        .value_kind:     by_value
      - .offset:         216
        .size:           4
        .value_kind:     hidden_block_count_x
      - .offset:         220
        .size:           4
        .value_kind:     hidden_block_count_y
      - .offset:         224
        .size:           4
        .value_kind:     hidden_block_count_z
      - .offset:         228
        .size:           2
        .value_kind:     hidden_group_size_x
      - .offset:         230
        .size:           2
        .value_kind:     hidden_group_size_y
      - .offset:         232
        .size:           2
        .value_kind:     hidden_group_size_z
      - .offset:         234
        .size:           2
        .value_kind:     hidden_remainder_x
      - .offset:         236
        .size:           2
        .value_kind:     hidden_remainder_y
      - .offset:         238
        .size:           2
        .value_kind:     hidden_remainder_z
      - .offset:         256
        .size:           8
        .value_kind:     hidden_global_offset_x
      - .offset:         264
        .size:           8
        .value_kind:     hidden_global_offset_y
      - .offset:         272
        .size:           8
        .value_kind:     hidden_global_offset_z
      - .offset:         280
        .size:           2
        .value_kind:     hidden_grid_dims
    .group_segment_fixed_size: 0
    .kernarg_segment_align: 8
    .kernarg_segment_size: 472
    .language:       OpenCL C
    .language_version:
      - 2
      - 0
    .max_flat_workgroup_size: 1024
    .name:           _ZN2at6native12_GLOBAL__N_145fractional_max_pool2d_backward_out_cuda_frameIdEEvN5torch10headeronly6detail27GenericPackedTensorAccessorINS5_14TensorAccessorIN3c108ArrayRefIlEET_Lm3ENS4_16DefaultPtrTraitsElEENS_6detail16IndexBoundsCheckILm4ElEESB_Lm4ESC_lEENS6_INS7_ISA_KSB_Lm3ESC_lEESG_SI_Lm4ESC_lEENS6_INS7_ISA_KlLm3ESC_lEESG_SL_Lm4ESC_lEE
    .private_segment_fixed_size: 0
    .sgpr_count:     28
    .sgpr_spill_count: 0
    .symbol:         _ZN2at6native12_GLOBAL__N_145fractional_max_pool2d_backward_out_cuda_frameIdEEvN5torch10headeronly6detail27GenericPackedTensorAccessorINS5_14TensorAccessorIN3c108ArrayRefIlEET_Lm3ENS4_16DefaultPtrTraitsElEENS_6detail16IndexBoundsCheckILm4ElEESB_Lm4ESC_lEENS6_INS7_ISA_KSB_Lm3ESC_lEESG_SI_Lm4ESC_lEENS6_INS7_ISA_KlLm3ESC_lEESG_SL_Lm4ESC_lEE.kd
    .uniform_work_group_size: 1
    .uses_dynamic_stack: false
    .vgpr_count:     18
    .vgpr_spill_count: 0
    .wavefront_size: 32
  - .args:
      - .offset:         0
        .size:           72
        .value_kind:     by_value
      - .offset:         72
        .size:           72
        .value_kind:     by_value
      - .offset:         144
        .size:           72
        .value_kind:     by_value
      - .offset:         216
        .size:           4
        .value_kind:     hidden_block_count_x
      - .offset:         220
        .size:           4
        .value_kind:     hidden_block_count_y
      - .offset:         224
        .size:           4
        .value_kind:     hidden_block_count_z
      - .offset:         228
        .size:           2
        .value_kind:     hidden_group_size_x
      - .offset:         230
        .size:           2
        .value_kind:     hidden_group_size_y
      - .offset:         232
        .size:           2
        .value_kind:     hidden_group_size_z
      - .offset:         234
        .size:           2
        .value_kind:     hidden_remainder_x
      - .offset:         236
        .size:           2
        .value_kind:     hidden_remainder_y
      - .offset:         238
        .size:           2
        .value_kind:     hidden_remainder_z
      - .offset:         256
        .size:           8
        .value_kind:     hidden_global_offset_x
      - .offset:         264
        .size:           8
        .value_kind:     hidden_global_offset_y
      - .offset:         272
        .size:           8
        .value_kind:     hidden_global_offset_z
      - .offset:         280
        .size:           2
        .value_kind:     hidden_grid_dims
    .group_segment_fixed_size: 0
    .kernarg_segment_align: 8
    .kernarg_segment_size: 472
    .language:       OpenCL C
    .language_version:
      - 2
      - 0
    .max_flat_workgroup_size: 1024
    .name:           _ZN2at6native12_GLOBAL__N_145fractional_max_pool2d_backward_out_cuda_frameIfEEvN5torch10headeronly6detail27GenericPackedTensorAccessorINS5_14TensorAccessorIN3c108ArrayRefIlEET_Lm3ENS4_16DefaultPtrTraitsElEENS_6detail16IndexBoundsCheckILm4ElEESB_Lm4ESC_lEENS6_INS7_ISA_KSB_Lm3ESC_lEESG_SI_Lm4ESC_lEENS6_INS7_ISA_KlLm3ESC_lEESG_SL_Lm4ESC_lEE
    .private_segment_fixed_size: 0
    .sgpr_count:     28
    .sgpr_spill_count: 0
    .symbol:         _ZN2at6native12_GLOBAL__N_145fractional_max_pool2d_backward_out_cuda_frameIfEEvN5torch10headeronly6detail27GenericPackedTensorAccessorINS5_14TensorAccessorIN3c108ArrayRefIlEET_Lm3ENS4_16DefaultPtrTraitsElEENS_6detail16IndexBoundsCheckILm4ElEESB_Lm4ESC_lEENS6_INS7_ISA_KSB_Lm3ESC_lEESG_SI_Lm4ESC_lEENS6_INS7_ISA_KlLm3ESC_lEESG_SL_Lm4ESC_lEE.kd
    .uniform_work_group_size: 1
    .uses_dynamic_stack: false
    .vgpr_count:     18
    .vgpr_spill_count: 0
    .wavefront_size: 32
  - .args:
      - .offset:         0
        .size:           72
        .value_kind:     by_value
      - .offset:         72
        .size:           72
        .value_kind:     by_value
      - .offset:         144
        .size:           72
        .value_kind:     by_value
      - .offset:         216
        .size:           4
        .value_kind:     hidden_block_count_x
      - .offset:         220
        .size:           4
        .value_kind:     hidden_block_count_y
      - .offset:         224
        .size:           4
        .value_kind:     hidden_block_count_z
      - .offset:         228
        .size:           2
        .value_kind:     hidden_group_size_x
      - .offset:         230
        .size:           2
        .value_kind:     hidden_group_size_y
      - .offset:         232
        .size:           2
        .value_kind:     hidden_group_size_z
      - .offset:         234
        .size:           2
        .value_kind:     hidden_remainder_x
      - .offset:         236
        .size:           2
        .value_kind:     hidden_remainder_y
      - .offset:         238
        .size:           2
        .value_kind:     hidden_remainder_z
      - .offset:         256
        .size:           8
        .value_kind:     hidden_global_offset_x
      - .offset:         264
        .size:           8
        .value_kind:     hidden_global_offset_y
      - .offset:         272
        .size:           8
        .value_kind:     hidden_global_offset_z
      - .offset:         280
        .size:           2
        .value_kind:     hidden_grid_dims
    .group_segment_fixed_size: 0
    .kernarg_segment_align: 8
    .kernarg_segment_size: 472
    .language:       OpenCL C
    .language_version:
      - 2
      - 0
    .max_flat_workgroup_size: 1024
    .name:           _ZN2at6native12_GLOBAL__N_145fractional_max_pool2d_backward_out_cuda_frameIN3c104HalfEEEvN5torch10headeronly6detail27GenericPackedTensorAccessorINS7_14TensorAccessorINS3_8ArrayRefIlEET_Lm3ENS6_16DefaultPtrTraitsElEENS_6detail16IndexBoundsCheckILm4ElEESC_Lm4ESD_lEENS8_INS9_ISB_KSC_Lm3ESD_lEESH_SJ_Lm4ESD_lEENS8_INS9_ISB_KlLm3ESD_lEESH_SM_Lm4ESD_lEE
    .private_segment_fixed_size: 0
    .sgpr_count:     28
    .sgpr_spill_count: 0
    .symbol:         _ZN2at6native12_GLOBAL__N_145fractional_max_pool2d_backward_out_cuda_frameIN3c104HalfEEEvN5torch10headeronly6detail27GenericPackedTensorAccessorINS7_14TensorAccessorINS3_8ArrayRefIlEET_Lm3ENS6_16DefaultPtrTraitsElEENS_6detail16IndexBoundsCheckILm4ElEESC_Lm4ESD_lEENS8_INS9_ISB_KSC_Lm3ESD_lEESH_SJ_Lm4ESD_lEENS8_INS9_ISB_KlLm3ESD_lEESH_SM_Lm4ESD_lEE.kd
    .uniform_work_group_size: 1
    .uses_dynamic_stack: false
    .vgpr_count:     18
    .vgpr_spill_count: 0
    .wavefront_size: 32
  - .args:
      - .offset:         0
        .size:           72
        .value_kind:     by_value
      - .offset:         72
        .size:           72
        .value_kind:     by_value
      - .offset:         144
        .size:           72
        .value_kind:     by_value
      - .offset:         216
        .size:           4
        .value_kind:     hidden_block_count_x
      - .offset:         220
        .size:           4
        .value_kind:     hidden_block_count_y
      - .offset:         224
        .size:           4
        .value_kind:     hidden_block_count_z
      - .offset:         228
        .size:           2
        .value_kind:     hidden_group_size_x
      - .offset:         230
        .size:           2
        .value_kind:     hidden_group_size_y
      - .offset:         232
        .size:           2
        .value_kind:     hidden_group_size_z
      - .offset:         234
        .size:           2
        .value_kind:     hidden_remainder_x
      - .offset:         236
        .size:           2
        .value_kind:     hidden_remainder_y
      - .offset:         238
        .size:           2
        .value_kind:     hidden_remainder_z
      - .offset:         256
        .size:           8
        .value_kind:     hidden_global_offset_x
      - .offset:         264
        .size:           8
        .value_kind:     hidden_global_offset_y
      - .offset:         272
        .size:           8
        .value_kind:     hidden_global_offset_z
      - .offset:         280
        .size:           2
        .value_kind:     hidden_grid_dims
    .group_segment_fixed_size: 0
    .kernarg_segment_align: 8
    .kernarg_segment_size: 472
    .language:       OpenCL C
    .language_version:
      - 2
      - 0
    .max_flat_workgroup_size: 1024
    .name:           _ZN2at6native12_GLOBAL__N_145fractional_max_pool2d_backward_out_cuda_frameIN3c108BFloat16EEEvN5torch10headeronly6detail27GenericPackedTensorAccessorINS7_14TensorAccessorINS3_8ArrayRefIlEET_Lm3ENS6_16DefaultPtrTraitsElEENS_6detail16IndexBoundsCheckILm4ElEESC_Lm4ESD_lEENS8_INS9_ISB_KSC_Lm3ESD_lEESH_SJ_Lm4ESD_lEENS8_INS9_ISB_KlLm3ESD_lEESH_SM_Lm4ESD_lEE
    .private_segment_fixed_size: 0
    .sgpr_count:     28
    .sgpr_spill_count: 0
    .symbol:         _ZN2at6native12_GLOBAL__N_145fractional_max_pool2d_backward_out_cuda_frameIN3c108BFloat16EEEvN5torch10headeronly6detail27GenericPackedTensorAccessorINS7_14TensorAccessorINS3_8ArrayRefIlEET_Lm3ENS6_16DefaultPtrTraitsElEENS_6detail16IndexBoundsCheckILm4ElEESC_Lm4ESD_lEENS8_INS9_ISB_KSC_Lm3ESD_lEESH_SJ_Lm4ESD_lEENS8_INS9_ISB_KlLm3ESD_lEESH_SM_Lm4ESD_lEE.kd
    .uniform_work_group_size: 1
    .uses_dynamic_stack: false
    .vgpr_count:     18
    .vgpr_spill_count: 0
    .wavefront_size: 32
amdhsa.target:   amdgcn-amd-amdhsa--gfx1250
amdhsa.version:
  - 1
  - 2
...

	.end_amdgpu_metadata
